;; amdgpu-corpus repo=ROCm/rocFFT kind=compiled arch=gfx1201 opt=O3
	.text
	.amdgcn_target "amdgcn-amd-amdhsa--gfx1201"
	.amdhsa_code_object_version 6
	.protected	fft_rtc_fwd_len952_factors_17_4_2_7_wgs_204_tpt_68_halfLds_dp_op_CI_CI_unitstride_sbrr_dirReg ; -- Begin function fft_rtc_fwd_len952_factors_17_4_2_7_wgs_204_tpt_68_halfLds_dp_op_CI_CI_unitstride_sbrr_dirReg
	.globl	fft_rtc_fwd_len952_factors_17_4_2_7_wgs_204_tpt_68_halfLds_dp_op_CI_CI_unitstride_sbrr_dirReg
	.p2align	8
	.type	fft_rtc_fwd_len952_factors_17_4_2_7_wgs_204_tpt_68_halfLds_dp_op_CI_CI_unitstride_sbrr_dirReg,@function
fft_rtc_fwd_len952_factors_17_4_2_7_wgs_204_tpt_68_halfLds_dp_op_CI_CI_unitstride_sbrr_dirReg: ; @fft_rtc_fwd_len952_factors_17_4_2_7_wgs_204_tpt_68_halfLds_dp_op_CI_CI_unitstride_sbrr_dirReg
; %bb.0:
	s_load_b128 s[8:11], s[0:1], 0x0
	v_mul_u32_u24_e32 v1, 0x3c4, v0
	s_clause 0x1
	s_load_b128 s[4:7], s[0:1], 0x58
	s_load_b128 s[12:15], s[0:1], 0x18
	v_mov_b32_e32 v3, 0
	v_lshrrev_b32_e32 v4, 16, v1
	s_delay_alu instid0(VALU_DEP_1) | instskip(SKIP_1) | instid1(VALU_DEP_4)
	v_mad_co_u64_u32 v[76:77], null, ttmp9, 3, v[4:5]
	v_mov_b32_e32 v1, 0
	v_dual_mov_b32 v2, 0 :: v_dual_mov_b32 v77, v3
	s_delay_alu instid0(VALU_DEP_1) | instskip(SKIP_2) | instid1(VALU_DEP_3)
	v_dual_mov_b32 v105, v2 :: v_dual_mov_b32 v104, v1
	s_wait_kmcnt 0x0
	v_cmp_lt_u64_e64 s2, s[10:11], 2
	v_dual_mov_b32 v109, v77 :: v_dual_mov_b32 v108, v76
	s_delay_alu instid0(VALU_DEP_2)
	s_and_b32 vcc_lo, exec_lo, s2
	s_cbranch_vccnz .LBB0_8
; %bb.1:
	s_load_b64 s[2:3], s[0:1], 0x10
	v_mov_b32_e32 v1, 0
	v_dual_mov_b32 v2, 0 :: v_dual_mov_b32 v5, v76
	v_mov_b32_e32 v6, v77
	s_add_nc_u64 s[16:17], s[14:15], 8
	s_add_nc_u64 s[18:19], s[12:13], 8
	s_delay_alu instid0(VALU_DEP_2)
	v_dual_mov_b32 v105, v2 :: v_dual_mov_b32 v104, v1
	s_mov_b64 s[20:21], 1
	s_wait_kmcnt 0x0
	s_add_nc_u64 s[22:23], s[2:3], 8
	s_mov_b32 s3, 0
.LBB0_2:                                ; =>This Inner Loop Header: Depth=1
	s_load_b64 s[24:25], s[22:23], 0x0
                                        ; implicit-def: $vgpr108_vgpr109
	s_mov_b32 s2, exec_lo
	s_wait_kmcnt 0x0
	v_or_b32_e32 v4, s25, v6
	s_delay_alu instid0(VALU_DEP_1)
	v_cmpx_ne_u64_e32 0, v[3:4]
	s_wait_alu 0xfffe
	s_xor_b32 s26, exec_lo, s2
	s_cbranch_execz .LBB0_4
; %bb.3:                                ;   in Loop: Header=BB0_2 Depth=1
	s_cvt_f32_u32 s2, s24
	s_cvt_f32_u32 s27, s25
	s_sub_nc_u64 s[30:31], 0, s[24:25]
	s_wait_alu 0xfffe
	s_delay_alu instid0(SALU_CYCLE_1) | instskip(SKIP_1) | instid1(SALU_CYCLE_2)
	s_fmamk_f32 s2, s27, 0x4f800000, s2
	s_wait_alu 0xfffe
	v_s_rcp_f32 s2, s2
	s_delay_alu instid0(TRANS32_DEP_1) | instskip(SKIP_1) | instid1(SALU_CYCLE_2)
	s_mul_f32 s2, s2, 0x5f7ffffc
	s_wait_alu 0xfffe
	s_mul_f32 s27, s2, 0x2f800000
	s_wait_alu 0xfffe
	s_delay_alu instid0(SALU_CYCLE_2) | instskip(SKIP_1) | instid1(SALU_CYCLE_2)
	s_trunc_f32 s27, s27
	s_wait_alu 0xfffe
	s_fmamk_f32 s2, s27, 0xcf800000, s2
	s_cvt_u32_f32 s29, s27
	s_wait_alu 0xfffe
	s_delay_alu instid0(SALU_CYCLE_1) | instskip(SKIP_1) | instid1(SALU_CYCLE_2)
	s_cvt_u32_f32 s28, s2
	s_wait_alu 0xfffe
	s_mul_u64 s[34:35], s[30:31], s[28:29]
	s_wait_alu 0xfffe
	s_mul_hi_u32 s37, s28, s35
	s_mul_i32 s36, s28, s35
	s_mul_hi_u32 s2, s28, s34
	s_mul_i32 s33, s29, s34
	s_wait_alu 0xfffe
	s_add_nc_u64 s[36:37], s[2:3], s[36:37]
	s_mul_hi_u32 s27, s29, s34
	s_mul_hi_u32 s38, s29, s35
	s_add_co_u32 s2, s36, s33
	s_wait_alu 0xfffe
	s_add_co_ci_u32 s2, s37, s27
	s_mul_i32 s34, s29, s35
	s_add_co_ci_u32 s35, s38, 0
	s_wait_alu 0xfffe
	s_add_nc_u64 s[34:35], s[2:3], s[34:35]
	s_wait_alu 0xfffe
	v_add_co_u32 v4, s2, s28, s34
	s_delay_alu instid0(VALU_DEP_1) | instskip(SKIP_1) | instid1(VALU_DEP_1)
	s_cmp_lg_u32 s2, 0
	s_add_co_ci_u32 s29, s29, s35
	v_readfirstlane_b32 s28, v4
	s_wait_alu 0xfffe
	s_delay_alu instid0(VALU_DEP_1)
	s_mul_u64 s[30:31], s[30:31], s[28:29]
	s_wait_alu 0xfffe
	s_mul_hi_u32 s35, s28, s31
	s_mul_i32 s34, s28, s31
	s_mul_hi_u32 s2, s28, s30
	s_mul_i32 s33, s29, s30
	s_wait_alu 0xfffe
	s_add_nc_u64 s[34:35], s[2:3], s[34:35]
	s_mul_hi_u32 s27, s29, s30
	s_mul_hi_u32 s28, s29, s31
	s_wait_alu 0xfffe
	s_add_co_u32 s2, s34, s33
	s_add_co_ci_u32 s2, s35, s27
	s_mul_i32 s30, s29, s31
	s_add_co_ci_u32 s31, s28, 0
	s_wait_alu 0xfffe
	s_add_nc_u64 s[30:31], s[2:3], s[30:31]
	s_wait_alu 0xfffe
	v_add_co_u32 v4, s2, v4, s30
	s_delay_alu instid0(VALU_DEP_1) | instskip(SKIP_1) | instid1(VALU_DEP_1)
	s_cmp_lg_u32 s2, 0
	s_add_co_ci_u32 s2, s29, s31
	v_mul_hi_u32 v13, v5, v4
	s_wait_alu 0xfffe
	v_mad_co_u64_u32 v[7:8], null, v5, s2, 0
	v_mad_co_u64_u32 v[9:10], null, v6, v4, 0
	;; [unrolled: 1-line block ×3, first 2 shown]
	s_delay_alu instid0(VALU_DEP_3) | instskip(SKIP_1) | instid1(VALU_DEP_4)
	v_add_co_u32 v4, vcc_lo, v13, v7
	s_wait_alu 0xfffd
	v_add_co_ci_u32_e32 v7, vcc_lo, 0, v8, vcc_lo
	s_delay_alu instid0(VALU_DEP_2) | instskip(SKIP_1) | instid1(VALU_DEP_2)
	v_add_co_u32 v4, vcc_lo, v4, v9
	s_wait_alu 0xfffd
	v_add_co_ci_u32_e32 v4, vcc_lo, v7, v10, vcc_lo
	s_wait_alu 0xfffd
	v_add_co_ci_u32_e32 v7, vcc_lo, 0, v12, vcc_lo
	s_delay_alu instid0(VALU_DEP_2) | instskip(SKIP_1) | instid1(VALU_DEP_2)
	v_add_co_u32 v4, vcc_lo, v4, v11
	s_wait_alu 0xfffd
	v_add_co_ci_u32_e32 v9, vcc_lo, 0, v7, vcc_lo
	s_delay_alu instid0(VALU_DEP_2) | instskip(SKIP_1) | instid1(VALU_DEP_3)
	v_mul_lo_u32 v10, s25, v4
	v_mad_co_u64_u32 v[7:8], null, s24, v4, 0
	v_mul_lo_u32 v11, s24, v9
	s_delay_alu instid0(VALU_DEP_2) | instskip(NEXT) | instid1(VALU_DEP_2)
	v_sub_co_u32 v7, vcc_lo, v5, v7
	v_add3_u32 v8, v8, v11, v10
	s_delay_alu instid0(VALU_DEP_1) | instskip(SKIP_1) | instid1(VALU_DEP_1)
	v_sub_nc_u32_e32 v10, v6, v8
	s_wait_alu 0xfffd
	v_subrev_co_ci_u32_e64 v10, s2, s25, v10, vcc_lo
	v_add_co_u32 v11, s2, v4, 2
	s_wait_alu 0xf1ff
	v_add_co_ci_u32_e64 v12, s2, 0, v9, s2
	v_sub_co_u32 v13, s2, v7, s24
	v_sub_co_ci_u32_e32 v8, vcc_lo, v6, v8, vcc_lo
	s_wait_alu 0xf1ff
	v_subrev_co_ci_u32_e64 v10, s2, 0, v10, s2
	s_delay_alu instid0(VALU_DEP_3) | instskip(NEXT) | instid1(VALU_DEP_3)
	v_cmp_le_u32_e32 vcc_lo, s24, v13
	v_cmp_eq_u32_e64 s2, s25, v8
	s_wait_alu 0xfffd
	v_cndmask_b32_e64 v13, 0, -1, vcc_lo
	v_cmp_le_u32_e32 vcc_lo, s25, v10
	s_wait_alu 0xfffd
	v_cndmask_b32_e64 v14, 0, -1, vcc_lo
	v_cmp_le_u32_e32 vcc_lo, s24, v7
	;; [unrolled: 3-line block ×3, first 2 shown]
	s_wait_alu 0xfffd
	v_cndmask_b32_e64 v15, 0, -1, vcc_lo
	v_cmp_eq_u32_e32 vcc_lo, s25, v10
	s_wait_alu 0xf1ff
	s_delay_alu instid0(VALU_DEP_2)
	v_cndmask_b32_e64 v7, v15, v7, s2
	s_wait_alu 0xfffd
	v_cndmask_b32_e32 v10, v14, v13, vcc_lo
	v_add_co_u32 v13, vcc_lo, v4, 1
	s_wait_alu 0xfffd
	v_add_co_ci_u32_e32 v14, vcc_lo, 0, v9, vcc_lo
	s_delay_alu instid0(VALU_DEP_3) | instskip(SKIP_1) | instid1(VALU_DEP_2)
	v_cmp_ne_u32_e32 vcc_lo, 0, v10
	s_wait_alu 0xfffd
	v_cndmask_b32_e32 v8, v14, v12, vcc_lo
	v_cndmask_b32_e32 v10, v13, v11, vcc_lo
	v_cmp_ne_u32_e32 vcc_lo, 0, v7
	s_wait_alu 0xfffd
	s_delay_alu instid0(VALU_DEP_2)
	v_dual_cndmask_b32 v109, v9, v8 :: v_dual_cndmask_b32 v108, v4, v10
.LBB0_4:                                ;   in Loop: Header=BB0_2 Depth=1
	s_wait_alu 0xfffe
	s_and_not1_saveexec_b32 s2, s26
	s_cbranch_execz .LBB0_6
; %bb.5:                                ;   in Loop: Header=BB0_2 Depth=1
	v_cvt_f32_u32_e32 v4, s24
	s_sub_co_i32 s26, 0, s24
	v_mov_b32_e32 v109, v3
	s_delay_alu instid0(VALU_DEP_2) | instskip(NEXT) | instid1(TRANS32_DEP_1)
	v_rcp_iflag_f32_e32 v4, v4
	v_mul_f32_e32 v4, 0x4f7ffffe, v4
	s_delay_alu instid0(VALU_DEP_1) | instskip(SKIP_1) | instid1(VALU_DEP_1)
	v_cvt_u32_f32_e32 v4, v4
	s_wait_alu 0xfffe
	v_mul_lo_u32 v7, s26, v4
	s_delay_alu instid0(VALU_DEP_1) | instskip(NEXT) | instid1(VALU_DEP_1)
	v_mul_hi_u32 v7, v4, v7
	v_add_nc_u32_e32 v4, v4, v7
	s_delay_alu instid0(VALU_DEP_1) | instskip(NEXT) | instid1(VALU_DEP_1)
	v_mul_hi_u32 v4, v5, v4
	v_mul_lo_u32 v7, v4, s24
	v_add_nc_u32_e32 v8, 1, v4
	s_delay_alu instid0(VALU_DEP_2) | instskip(NEXT) | instid1(VALU_DEP_1)
	v_sub_nc_u32_e32 v7, v5, v7
	v_subrev_nc_u32_e32 v9, s24, v7
	v_cmp_le_u32_e32 vcc_lo, s24, v7
	s_wait_alu 0xfffd
	s_delay_alu instid0(VALU_DEP_2) | instskip(NEXT) | instid1(VALU_DEP_1)
	v_dual_cndmask_b32 v7, v7, v9 :: v_dual_cndmask_b32 v4, v4, v8
	v_cmp_le_u32_e32 vcc_lo, s24, v7
	s_delay_alu instid0(VALU_DEP_2) | instskip(SKIP_1) | instid1(VALU_DEP_1)
	v_add_nc_u32_e32 v8, 1, v4
	s_wait_alu 0xfffd
	v_cndmask_b32_e32 v108, v4, v8, vcc_lo
.LBB0_6:                                ;   in Loop: Header=BB0_2 Depth=1
	s_wait_alu 0xfffe
	s_or_b32 exec_lo, exec_lo, s2
	v_mul_lo_u32 v4, v109, s24
	s_delay_alu instid0(VALU_DEP_2)
	v_mul_lo_u32 v9, v108, s25
	s_load_b64 s[26:27], s[18:19], 0x0
	v_mad_co_u64_u32 v[7:8], null, v108, s24, 0
	s_load_b64 s[24:25], s[16:17], 0x0
	s_add_nc_u64 s[20:21], s[20:21], 1
	s_add_nc_u64 s[16:17], s[16:17], 8
	s_wait_alu 0xfffe
	v_cmp_ge_u64_e64 s2, s[20:21], s[10:11]
	s_add_nc_u64 s[18:19], s[18:19], 8
	s_add_nc_u64 s[22:23], s[22:23], 8
	v_add3_u32 v4, v8, v9, v4
	v_sub_co_u32 v5, vcc_lo, v5, v7
	s_wait_alu 0xfffd
	s_delay_alu instid0(VALU_DEP_2) | instskip(SKIP_2) | instid1(VALU_DEP_1)
	v_sub_co_ci_u32_e32 v4, vcc_lo, v6, v4, vcc_lo
	s_and_b32 vcc_lo, exec_lo, s2
	s_wait_kmcnt 0x0
	v_mul_lo_u32 v6, s26, v4
	v_mul_lo_u32 v7, s27, v5
	v_mad_co_u64_u32 v[1:2], null, s26, v5, v[1:2]
	v_mul_lo_u32 v4, s24, v4
	v_mul_lo_u32 v8, s25, v5
	v_mad_co_u64_u32 v[104:105], null, s24, v5, v[104:105]
	s_delay_alu instid0(VALU_DEP_4) | instskip(NEXT) | instid1(VALU_DEP_2)
	v_add3_u32 v2, v7, v2, v6
	v_add3_u32 v105, v8, v105, v4
	s_wait_alu 0xfffe
	s_cbranch_vccnz .LBB0_8
; %bb.7:                                ;   in Loop: Header=BB0_2 Depth=1
	v_dual_mov_b32 v5, v108 :: v_dual_mov_b32 v6, v109
	s_branch .LBB0_2
.LBB0_8:
	s_load_b64 s[0:1], s[0:1], 0x28
	v_mul_hi_u32 v3, 0x3c3c3c4, v0
	s_lshl_b64 s[2:3], s[10:11], 3
                                        ; implicit-def: $vgpr46_vgpr47
                                        ; implicit-def: $vgpr50_vgpr51
                                        ; implicit-def: $vgpr58_vgpr59
                                        ; implicit-def: $vgpr70_vgpr71
                                        ; implicit-def: $vgpr42_vgpr43
                                        ; implicit-def: $vgpr38_vgpr39
                                        ; implicit-def: $vgpr22_vgpr23
                                        ; implicit-def: $vgpr14_vgpr15
                                        ; implicit-def: $vgpr6_vgpr7
                                        ; implicit-def: $vgpr10_vgpr11
                                        ; implicit-def: $vgpr26_vgpr27
                                        ; implicit-def: $vgpr30_vgpr31
                                        ; implicit-def: $vgpr54_vgpr55
                                        ; implicit-def: $vgpr62_vgpr63
                                        ; implicit-def: $vgpr74_vgpr75
                                        ; implicit-def: $vgpr66_vgpr67
                                        ; implicit-def: $vgpr34_vgpr35
	s_delay_alu instid0(VALU_DEP_1) | instskip(NEXT) | instid1(VALU_DEP_1)
	v_mul_u32_u24_e32 v3, 0x44, v3
	v_sub_nc_u32_e32 v106, v0, v3
	s_wait_kmcnt 0x0
	v_cmp_gt_u64_e32 vcc_lo, s[0:1], v[108:109]
	s_delay_alu instid0(VALU_DEP_2) | instskip(NEXT) | instid1(VALU_DEP_1)
	v_cmp_gt_u32_e64 s0, 56, v106
	s_and_b32 s1, vcc_lo, s0
	s_wait_alu 0xfffe
	s_and_saveexec_b32 s10, s1
	s_cbranch_execz .LBB0_10
; %bb.9:
	s_add_nc_u64 s[12:13], s[12:13], s[2:3]
	v_mov_b32_e32 v107, 0
	s_load_b64 s[12:13], s[12:13], 0x0
	s_wait_kmcnt 0x0
	v_mul_lo_u32 v0, s13, v108
	v_mul_lo_u32 v5, s12, v109
	v_mad_co_u64_u32 v[3:4], null, s12, v108, 0
	s_delay_alu instid0(VALU_DEP_1) | instskip(SKIP_1) | instid1(VALU_DEP_2)
	v_add3_u32 v4, v4, v5, v0
	v_lshlrev_b64_e32 v[0:1], 4, v[1:2]
	v_lshlrev_b64_e32 v[3:4], 4, v[3:4]
	s_delay_alu instid0(VALU_DEP_1) | instskip(SKIP_1) | instid1(VALU_DEP_2)
	v_add_co_u32 v5, s1, s4, v3
	s_wait_alu 0xf1ff
	v_add_co_ci_u32_e64 v4, s1, s5, v4, s1
	v_lshlrev_b64_e32 v[2:3], 4, v[106:107]
	s_delay_alu instid0(VALU_DEP_3) | instskip(SKIP_1) | instid1(VALU_DEP_3)
	v_add_co_u32 v0, s1, v5, v0
	s_wait_alu 0xf1ff
	v_add_co_ci_u32_e64 v1, s1, v4, v1, s1
	s_delay_alu instid0(VALU_DEP_2) | instskip(SKIP_1) | instid1(VALU_DEP_2)
	v_add_co_u32 v0, s1, v0, v2
	s_wait_alu 0xf1ff
	v_add_co_ci_u32_e64 v1, s1, v1, v3, s1
	s_clause 0x10
	global_load_b128 v[32:35], v[0:1], off
	global_load_b128 v[44:47], v[0:1], off offset:896
	global_load_b128 v[48:51], v[0:1], off offset:1792
	;; [unrolled: 1-line block ×16, first 2 shown]
.LBB0_10:
	s_wait_alu 0xfffe
	s_or_b32 exec_lo, exec_lo, s10
	s_wait_loadcnt 0x0
	v_add_f64_e32 v[77:78], v[44:45], v[4:5]
	s_mov_b32 s4, 0x75d4884
	s_mov_b32 s10, 0x2b2883cd
	;; [unrolled: 1-line block ×8, first 2 shown]
	v_add_f64_e64 v[79:80], v[46:47], -v[6:7]
	v_add_f64_e32 v[81:82], v[48:49], v[8:9]
	s_mov_b32 s38, 0x2a9d6da3
	s_mov_b32 s50, 0x7c9e640b
	;; [unrolled: 1-line block ×14, first 2 shown]
	v_add_f64_e64 v[178:179], v[50:51], -v[10:11]
	v_add_f64_e32 v[140:141], v[12:13], v[64:65]
	s_mov_b32 s26, 0x6c9a05f6
	s_mov_b32 s24, 0xacd6c6b4
	;; [unrolled: 1-line block ×6, first 2 shown]
	v_add_f64_e64 v[176:177], v[66:67], -v[14:15]
	v_add_f64_e32 v[128:129], v[20:21], v[72:73]
	s_mov_b32 s44, 0x370991
	s_mov_b32 s59, 0x3fc7851a
	;; [unrolled: 1-line block ×3, first 2 shown]
	s_wait_alu 0xfffe
	v_mul_f64_e32 v[118:119], s[4:5], v[77:78]
	v_mul_f64_e32 v[122:123], s[10:11], v[77:78]
	;; [unrolled: 1-line block ×4, first 2 shown]
	s_mov_b32 s31, 0x3fe58eea
	s_mov_b32 s45, 0x3fedd6d0
	;; [unrolled: 1-line block ×5, first 2 shown]
	v_add_f64_e64 v[162:163], v[74:75], -v[22:23]
	v_mul_f64_e32 v[164:165], s[12:13], v[81:82]
	v_mul_f64_e32 v[166:167], s[28:29], v[81:82]
	;; [unrolled: 1-line block ×4, first 2 shown]
	v_add_f64_e32 v[112:113], v[56:57], v[24:25]
	s_mov_b32 s36, 0x5d8e7cdc
	s_mov_b32 s37, 0x3fd71e95
	v_add_f64_e64 v[152:153], v[58:59], -v[26:27]
	v_add_f64_e64 v[142:143], v[70:71], -v[30:31]
	s_mov_b32 s53, 0xbfd71e95
	s_mov_b32 s43, 0xbfe0d888
	;; [unrolled: 1-line block ×6, first 2 shown]
	v_add_f64_e64 v[130:131], v[62:63], -v[38:39]
	v_mul_f64_e32 v[154:155], s[28:29], v[140:141]
	v_mul_f64_e32 v[156:157], s[18:19], v[140:141]
	;; [unrolled: 1-line block ×4, first 2 shown]
	s_mov_b32 s49, 0x3feca52d
	s_mov_b32 s57, 0x3fe9895b
	;; [unrolled: 1-line block ×4, first 2 shown]
	v_mul_f64_e32 v[144:145], s[18:19], v[128:129]
	v_mul_f64_e32 v[146:147], s[16:17], v[128:129]
	;; [unrolled: 1-line block ×4, first 2 shown]
	v_fma_f64 v[0:1], v[79:80], s[38:39], v[118:119]
	v_fma_f64 v[2:3], v[79:80], s[50:51], v[122:123]
	;; [unrolled: 1-line block ×4, first 2 shown]
	v_mul_hi_u32 v103, 0xaaaaaaab, v76
	v_fma_f64 v[83:84], v[178:179], s[34:35], v[164:165]
	v_fma_f64 v[85:86], v[178:179], s[26:27], v[166:167]
	;; [unrolled: 1-line block ×4, first 2 shown]
	v_mul_f64_e32 v[132:133], s[20:21], v[112:113]
	v_mul_f64_e32 v[134:135], s[4:5], v[112:113]
	;; [unrolled: 1-line block ×4, first 2 shown]
	v_lshrrev_b32_e32 v103, 1, v103
	s_delay_alu instid0(VALU_DEP_1)
	v_lshl_add_u32 v103, v103, 1, v103
	v_fma_f64 v[91:92], v[176:177], s[26:27], v[154:155]
	v_fma_f64 v[93:94], v[176:177], s[58:59], v[156:157]
	;; [unrolled: 1-line block ×3, first 2 shown]
	s_wait_alu 0xfffe
	v_fma_f64 v[97:98], v[176:177], s[30:31], v[160:161]
	v_sub_nc_u32_e32 v76, v76, v103
	s_delay_alu instid0(VALU_DEP_1)
	v_mul_u32_u24_e32 v76, 0x3b8, v76
	v_fma_f64 v[99:100], v[162:163], s[36:37], v[148:149]
	v_fma_f64 v[110:111], v[162:163], s[50:51], v[150:151]
	v_add_f64_e32 v[0:1], v[0:1], v[32:33]
	v_add_f64_e32 v[2:3], v[2:3], v[32:33]
	v_add_f64_e32 v[16:17], v[16:17], v[32:33]
	v_add_f64_e32 v[18:19], v[18:19], v[32:33]
	v_fma_f64 v[126:127], v[152:153], s[50:51], v[136:137]
	v_fma_f64 v[180:181], v[152:153], s[24:25], v[138:139]
	v_add_f64_e32 v[0:1], v[83:84], v[0:1]
	v_add_f64_e32 v[2:3], v[85:86], v[2:3]
	;; [unrolled: 1-line block ×5, first 2 shown]
	v_fma_f64 v[83:84], v[162:163], s[24:25], v[144:145]
	v_fma_f64 v[89:90], v[162:163], s[46:47], v[146:147]
	v_add_f64_e32 v[85:86], v[36:37], v[60:61]
	v_add_f64_e32 v[0:1], v[91:92], v[0:1]
	v_add_f64_e32 v[2:3], v[93:94], v[2:3]
	v_add_f64_e32 v[16:17], v[95:96], v[16:17]
	v_add_f64_e32 v[18:19], v[97:98], v[18:19]
	v_mul_f64_e32 v[101:102], s[16:17], v[87:88]
	v_mul_f64_e32 v[114:115], s[44:45], v[87:88]
	v_mul_f64_e32 v[120:121], s[20:21], v[87:88]
	v_mul_f64_e32 v[124:125], s[12:13], v[87:88]
	v_fma_f64 v[91:92], v[152:153], s[54:55], v[132:133]
	v_fma_f64 v[97:98], v[152:153], s[30:31], v[134:135]
	v_mul_f64_e32 v[93:94], s[10:11], v[85:86]
	v_mul_f64_e32 v[95:96], s[12:13], v[85:86]
	;; [unrolled: 1-line block ×3, first 2 shown]
	v_add_f64_e32 v[0:1], v[83:84], v[0:1]
	v_add_f64_e32 v[2:3], v[89:90], v[2:3]
	;; [unrolled: 1-line block ×5, first 2 shown]
	v_mul_f64_e32 v[110:111], s[28:29], v[85:86]
	v_fma_f64 v[182:183], v[142:143], s[46:47], v[101:102]
	v_fma_f64 v[184:185], v[142:143], s[52:53], v[114:115]
	;; [unrolled: 1-line block ×6, first 2 shown]
	v_add_f64_e32 v[0:1], v[91:92], v[0:1]
	v_add_f64_e32 v[2:3], v[97:98], v[2:3]
	;; [unrolled: 1-line block ×4, first 2 shown]
	v_add_f64_e64 v[126:127], v[54:55], -v[42:43]
	v_mul_f64_e32 v[89:90], s[44:45], v[83:84]
	v_mul_f64_e32 v[91:92], s[20:21], v[83:84]
	;; [unrolled: 1-line block ×4, first 2 shown]
	v_fma_f64 v[180:181], v[130:131], s[48:49], v[93:94]
	v_fma_f64 v[192:193], v[130:131], s[56:57], v[110:111]
	v_add_f64_e32 v[0:1], v[182:183], v[0:1]
	v_add_f64_e32 v[2:3], v[184:185], v[2:3]
	;; [unrolled: 1-line block ×4, first 2 shown]
	v_fma_f64 v[182:183], v[126:127], s[36:37], v[89:90]
	v_fma_f64 v[184:185], v[126:127], s[42:43], v[91:92]
	v_fma_f64 v[186:187], v[126:127], s[30:31], v[97:98]
	v_fma_f64 v[188:189], v[126:127], s[26:27], v[99:100]
	v_add_f64_e32 v[0:1], v[180:181], v[0:1]
	v_add_f64_e32 v[180:181], v[190:191], v[2:3]
	;; [unrolled: 1-line block ×4, first 2 shown]
	s_delay_alu instid0(VALU_DEP_4) | instskip(NEXT) | instid1(VALU_DEP_4)
	v_add_f64_e32 v[2:3], v[182:183], v[0:1]
	v_add_f64_e32 v[0:1], v[184:185], v[180:181]
	s_delay_alu instid0(VALU_DEP_4) | instskip(NEXT) | instid1(VALU_DEP_4)
	v_add_f64_e32 v[18:19], v[186:187], v[16:17]
	v_add_f64_e32 v[16:17], v[188:189], v[190:191]
	v_lshlrev_b32_e32 v180, 3, v76
	s_and_saveexec_b32 s1, s0
	s_cbranch_execz .LBB0_12
; %bb.11:
	v_add_f64_e32 v[181:182], v[44:45], v[32:33]
	v_mul_f64_e32 v[189:190], s[22:23], v[79:80]
	v_mul_f64_e32 v[191:192], s[34:35], v[79:80]
	;; [unrolled: 1-line block ×24, first 2 shown]
	v_add_f64_e32 v[181:182], v[48:49], v[181:182]
	v_add_f64_e64 v[174:175], v[174:175], -v[189:190]
	v_add_f64_e64 v[168:169], v[168:169], -v[191:192]
	v_fma_f64 v[211:212], v[77:78], s[18:19], v[183:184]
	v_fma_f64 v[183:184], v[77:78], s[18:19], -v[183:184]
	v_fma_f64 v[213:214], v[77:78], s[20:21], v[185:186]
	v_fma_f64 v[185:186], v[77:78], s[20:21], -v[185:186]
	;; [unrolled: 2-line block ×3, first 2 shown]
	v_add_f64_e64 v[122:123], v[122:123], -v[193:194]
	v_add_f64_e64 v[79:80], v[118:119], -v[79:80]
	v_fma_f64 v[189:190], v[77:78], s[44:45], -v[195:196]
	v_fma_f64 v[76:77], v[77:78], s[44:45], v[195:196]
	v_mul_f64_e32 v[191:192], s[46:47], v[176:177]
	v_add_f64_e64 v[172:173], v[172:173], -v[197:198]
	v_add_f64_e64 v[170:171], v[170:171], -v[199:200]
	v_mul_f64_e32 v[193:194], s[58:59], v[176:177]
	v_mul_f64_e32 v[195:196], s[26:27], v[176:177]
	v_add_f64_e64 v[166:167], v[166:167], -v[201:202]
	v_add_f64_e64 v[164:165], v[164:165], -v[203:204]
	v_fma_f64 v[197:198], v[81:82], s[44:45], v[205:206]
	v_fma_f64 v[199:200], v[81:82], s[44:45], -v[205:206]
	v_fma_f64 v[201:202], v[81:82], s[10:11], v[207:208]
	v_fma_f64 v[203:204], v[81:82], s[10:11], -v[207:208]
	;; [unrolled: 2-line block ×4, first 2 shown]
	v_add_f64_e64 v[146:147], v[146:147], -v[223:224]
	v_add_f64_e64 v[144:145], v[144:145], -v[225:226]
	v_add_f64_e32 v[181:182], v[64:65], v[181:182]
	v_add_f64_e32 v[174:175], v[174:175], v[32:33]
	;; [unrolled: 1-line block ×13, first 2 shown]
	v_mul_f64_e32 v[76:77], s[50:51], v[162:163]
	v_mul_f64_e32 v[215:216], s[36:37], v[162:163]
	v_add_f64_e64 v[158:159], v[158:159], -v[191:192]
	v_mul_f64_e32 v[162:163], s[34:35], v[162:163]
	v_add_f64_e64 v[156:157], v[156:157], -v[193:194]
	v_add_f64_e64 v[154:155], v[154:155], -v[195:196]
	v_fma_f64 v[191:192], v[140:141], s[20:21], -v[217:218]
	v_fma_f64 v[193:194], v[140:141], s[12:13], v[219:220]
	v_fma_f64 v[195:196], v[140:141], s[12:13], -v[219:220]
	v_fma_f64 v[219:220], v[140:141], s[44:45], -v[221:222]
	v_add_f64_e32 v[181:182], v[72:73], v[181:182]
	v_add_f64_e32 v[172:173], v[172:173], v[174:175]
	;; [unrolled: 1-line block ×3, first 2 shown]
	v_mul_f64_e32 v[174:175], s[30:31], v[152:153]
	v_add_f64_e32 v[185:186], v[203:204], v[185:186]
	v_fma_f64 v[203:204], v[128:129], s[4:5], -v[227:228]
	v_add_f64_e32 v[170:171], v[207:208], v[187:188]
	v_add_f64_e32 v[122:123], v[166:167], v[122:123]
	v_add_f64_e32 v[78:79], v[164:165], v[78:79]
	v_add_f64_e32 v[80:81], v[81:82], v[189:190]
	v_add_f64_e32 v[32:33], v[209:210], v[32:33]
	v_mul_f64_e32 v[164:165], s[24:25], v[152:153]
	v_mul_f64_e32 v[166:167], s[50:51], v[152:153]
	v_add_f64_e64 v[76:77], v[150:151], -v[76:77]
	v_add_f64_e64 v[148:149], v[148:149], -v[215:216]
	v_mul_f64_e32 v[187:188], s[54:55], v[152:153]
	v_mul_f64_e32 v[189:190], s[26:27], v[152:153]
	v_fma_f64 v[150:151], v[128:129], s[4:5], v[227:228]
	v_fma_f64 v[207:208], v[128:129], s[28:29], -v[229:230]
	v_fma_f64 v[209:210], v[128:129], s[20:21], v[231:232]
	v_add_f64_e32 v[181:182], v[56:57], v[181:182]
	v_add_f64_e32 v[158:159], v[158:159], v[168:169]
	v_add_f64_e64 v[134:135], v[134:135], -v[174:175]
	v_add_f64_e32 v[168:169], v[219:220], v[170:171]
	v_add_f64_e32 v[122:123], v[156:157], v[122:123]
	;; [unrolled: 1-line block ×3, first 2 shown]
	v_mul_f64_e32 v[154:155], s[40:41], v[142:143]
	v_mul_f64_e32 v[156:157], s[48:49], v[142:143]
	v_add_f64_e64 v[138:139], v[138:139], -v[164:165]
	v_add_f64_e64 v[136:137], v[136:137], -v[166:167]
	v_mul_f64_e32 v[170:171], s[24:25], v[142:143]
	v_add_f64_e64 v[132:133], v[132:133], -v[187:188]
	v_fma_f64 v[164:165], v[112:113], s[28:29], v[189:190]
	v_fma_f64 v[166:167], v[112:113], s[28:29], -v[189:190]
	v_add_f64_e32 v[181:182], v[68:69], v[181:182]
	v_add_f64_e32 v[148:149], v[148:149], v[158:159]
	v_add_f64_e32 v[122:123], v[146:147], v[122:123]
	v_add_f64_e32 v[78:79], v[144:145], v[78:79]
	v_add_f64_e64 v[124:125], v[124:125], -v[154:155]
	v_mul_f64_e32 v[144:145], s[22:23], v[130:131]
	v_mul_f64_e32 v[146:147], s[30:31], v[130:131]
	v_fma_f64 v[154:155], v[87:88], s[10:11], v[156:157]
	v_fma_f64 v[156:157], v[87:88], s[10:11], -v[156:157]
	v_add_f64_e32 v[181:182], v[60:61], v[181:182]
	v_add_f64_e32 v[136:137], v[136:137], v[148:149]
	v_mul_f64_e32 v[148:149], s[26:27], v[126:127]
	v_add_f64_e32 v[122:123], v[134:135], v[122:123]
	v_add_f64_e32 v[78:79], v[132:133], v[78:79]
	v_mul_f64_e32 v[134:135], s[30:31], v[126:127]
	v_mul_f64_e32 v[132:133], s[42:43], v[126:127]
	v_add_f64_e32 v[118:119], v[52:53], v[181:182]
	v_mul_f64_e32 v[181:182], s[30:31], v[176:177]
	v_mul_f64_e32 v[176:177], s[50:51], v[176:177]
	v_add_f64_e64 v[99:100], v[99:100], -v[148:149]
	v_add_f64_e64 v[97:98], v[97:98], -v[134:135]
	;; [unrolled: 1-line block ×3, first 2 shown]
	v_add_f64_e32 v[118:119], v[40:41], v[118:119]
	v_add_f64_e64 v[160:161], v[160:161], -v[181:182]
	v_fma_f64 v[181:182], v[140:141], s[20:21], v[217:218]
	v_fma_f64 v[217:218], v[140:141], s[44:45], v[221:222]
	;; [unrolled: 1-line block ×3, first 2 shown]
	v_fma_f64 v[140:141], v[140:141], s[10:11], -v[176:177]
	v_add_f64_e32 v[176:177], v[197:198], v[178:179]
	v_add_f64_e32 v[178:179], v[199:200], v[183:184]
	;; [unrolled: 1-line block ×4, first 2 shown]
	v_mul_f64_e32 v[199:200], s[52:53], v[152:153]
	v_mul_f64_e32 v[201:202], s[40:41], v[152:153]
	;; [unrolled: 1-line block ×3, first 2 shown]
	v_fma_f64 v[205:206], v[128:129], s[28:29], v[229:230]
	v_fma_f64 v[211:212], v[128:129], s[20:21], -v[231:232]
	v_fma_f64 v[213:214], v[128:129], s[12:13], v[162:163]
	v_fma_f64 v[128:129], v[128:129], s[12:13], -v[162:163]
	v_add_f64_e32 v[118:119], v[36:37], v[118:119]
	v_add_f64_e32 v[160:161], v[160:161], v[172:173]
	v_mul_f64_e32 v[172:173], s[52:53], v[142:143]
	v_add_f64_e32 v[32:33], v[221:222], v[32:33]
	v_add_f64_e32 v[80:81], v[140:141], v[80:81]
	;; [unrolled: 1-line block ×7, first 2 shown]
	v_mul_f64_e32 v[140:141], s[42:43], v[142:143]
	v_mul_f64_e32 v[185:186], s[38:39], v[142:143]
	;; [unrolled: 1-line block ×4, first 2 shown]
	v_fma_f64 v[174:175], v[112:113], s[44:45], v[199:200]
	v_fma_f64 v[187:188], v[112:113], s[44:45], -v[199:200]
	v_fma_f64 v[189:190], v[112:113], s[12:13], v[201:202]
	v_fma_f64 v[193:194], v[112:113], s[12:13], -v[201:202]
	;; [unrolled: 2-line block ×3, first 2 shown]
	v_add_f64_e32 v[158:159], v[211:212], v[168:169]
	v_mul_f64_e32 v[168:169], s[52:53], v[130:131]
	v_add_f64_e32 v[118:119], v[28:29], v[118:119]
	v_add_f64_e32 v[76:77], v[76:77], v[160:161]
	v_mul_f64_e32 v[160:161], s[24:25], v[130:131]
	v_add_f64_e64 v[114:115], v[114:115], -v[172:173]
	v_add_f64_e32 v[32:33], v[213:214], v[32:33]
	v_add_f64_e32 v[80:81], v[128:129], v[80:81]
	;; [unrolled: 1-line block ×7, first 2 shown]
	v_mul_f64_e32 v[181:182], s[56:57], v[130:131]
	v_add_f64_e64 v[120:121], v[120:121], -v[140:141]
	v_mul_f64_e32 v[128:129], s[34:35], v[130:131]
	v_mul_f64_e32 v[183:184], s[48:49], v[130:131]
	;; [unrolled: 1-line block ×3, first 2 shown]
	v_fma_f64 v[140:141], v[87:88], s[18:19], v[170:171]
	v_fma_f64 v[170:171], v[87:88], s[18:19], -v[170:171]
	v_fma_f64 v[172:173], v[87:88], s[4:5], v[185:186]
	v_fma_f64 v[185:186], v[87:88], s[4:5], -v[185:186]
	v_add_f64_e64 v[101:102], v[101:102], -v[191:192]
	v_fma_f64 v[191:192], v[87:88], s[28:29], v[142:143]
	v_fma_f64 v[87:88], v[87:88], s[28:29], -v[142:143]
	v_add_f64_e64 v[116:117], v[116:117], -v[168:169]
	v_add_f64_e32 v[118:119], v[24:25], v[118:119]
	v_add_f64_e32 v[76:77], v[138:139], v[76:77]
	;; [unrolled: 1-line block ×3, first 2 shown]
	v_mul_f64_e32 v[158:159], s[40:41], v[126:127]
	v_add_f64_e32 v[32:33], v[195:196], v[32:33]
	v_add_f64_e32 v[80:81], v[112:113], v[80:81]
	;; [unrolled: 1-line block ×7, first 2 shown]
	v_add_f64_e64 v[110:111], v[110:111], -v[181:182]
	v_add_f64_e32 v[120:121], v[120:121], v[136:137]
	v_mul_f64_e32 v[166:167], s[22:23], v[126:127]
	v_mul_f64_e32 v[174:175], s[48:49], v[126:127]
	v_fma_f64 v[176:177], v[85:86], s[16:17], v[144:145]
	v_fma_f64 v[144:145], v[85:86], s[16:17], -v[144:145]
	v_fma_f64 v[178:179], v[85:86], s[4:5], v[146:147]
	v_fma_f64 v[146:147], v[85:86], s[4:5], -v[146:147]
	;; [unrolled: 2-line block ×3, first 2 shown]
	v_add_f64_e64 v[95:96], v[95:96], -v[128:129]
	v_fma_f64 v[128:129], v[85:86], s[20:21], v[130:131]
	v_fma_f64 v[85:86], v[85:86], s[20:21], -v[130:131]
	v_add_f64_e64 v[93:94], v[93:94], -v[183:184]
	v_add_f64_e32 v[114:115], v[114:115], v[122:123]
	v_add_f64_e32 v[78:79], v[101:102], v[78:79]
	;; [unrolled: 1-line block ×4, first 2 shown]
	v_mul_f64_e32 v[118:119], s[36:37], v[126:127]
	v_mul_f64_e32 v[126:127], s[24:25], v[126:127]
	v_add_f64_e32 v[124:125], v[185:186], v[138:139]
	v_add_f64_e32 v[80:81], v[87:88], v[80:81]
	;; [unrolled: 1-line block ×9, first 2 shown]
	v_fma_f64 v[101:102], v[83:84], s[12:13], v[158:159]
	v_fma_f64 v[122:123], v[83:84], s[16:17], v[166:167]
	v_fma_f64 v[136:137], v[83:84], s[16:17], -v[166:167]
	v_fma_f64 v[138:139], v[83:84], s[10:11], v[174:175]
	v_fma_f64 v[154:155], v[83:84], s[10:11], -v[174:175]
	v_add_f64_e32 v[95:96], v[95:96], v[114:115]
	v_add_f64_e32 v[78:79], v[93:94], v[78:79]
	;; [unrolled: 1-line block ×4, first 2 shown]
	v_fma_f64 v[112:113], v[83:84], s[12:13], -v[158:159]
	v_add_f64_e64 v[89:90], v[89:90], -v[118:119]
	v_fma_f64 v[118:119], v[83:84], s[18:19], v[126:127]
	v_fma_f64 v[82:83], v[83:84], s[18:19], -v[126:127]
	v_add_f64_e32 v[126:127], v[176:177], v[130:131]
	v_add_f64_e32 v[130:131], v[144:145], v[142:143]
	;; [unrolled: 1-line block ×22, first 2 shown]
	v_mul_u32_u24_e32 v84, 0x88, v106
	s_delay_alu instid0(VALU_DEP_1)
	v_add3_u32 v84, 0, v84, v180
	ds_store_2addr_b64 v84, v[16:17], v[18:19] offset0:12 offset1:13
	ds_store_2addr_b64 v84, v[0:1], v[2:3] offset0:14 offset1:15
	ds_store_2addr_b64 v84, v[97:98], v[76:77] offset0:4 offset1:5
	ds_store_2addr_b64 v84, v[99:100], v[112:113] offset0:6 offset1:7
	ds_store_2addr_b64 v84, v[93:94], v[86:87] offset0:8 offset1:9
	ds_store_2addr_b64 v84, v[101:102], v[114:115] offset0:10 offset1:11
	ds_store_2addr_b64 v84, v[78:79], v[91:92] offset0:2 offset1:3
	ds_store_2addr_b64 v84, v[82:83], v[80:81] offset1:1
	ds_store_b64 v84, v[32:33] offset:128
.LBB0_12:
	s_wait_alu 0xfffe
	s_or_b32 exec_lo, exec_lo, s1
	v_lshlrev_b32_e32 v32, 3, v106
	global_wb scope:SCOPE_SE
	s_wait_dscnt 0x0
	s_barrier_signal -1
	s_barrier_wait -1
	global_inv scope:SCOPE_SE
	v_add_nc_u32_e32 v107, 0, v32
	v_add3_u32 v178, 0, v180, v32
	v_cmp_gt_u32_e64 s1, 34, v106
	s_delay_alu instid0(VALU_DEP_3) | instskip(NEXT) | instid1(VALU_DEP_1)
	v_add_nc_u32_e32 v179, v107, v180
	v_add_nc_u32_e32 v32, 0x400, v179
	;; [unrolled: 1-line block ×5, first 2 shown]
	ds_load_2addr_b64 v[84:87], v179 offset0:68 offset1:136
	ds_load_2addr_b64 v[88:91], v32 offset0:110 offset1:178
	;; [unrolled: 1-line block ×5, first 2 shown]
	ds_load_b64 v[110:111], v178
	ds_load_b64 v[112:113], v179 offset:6800
	s_and_saveexec_b32 s4, s1
	s_cbranch_execz .LBB0_14
; %bb.13:
	v_add_nc_u32_e32 v0, 0x600, v179
	v_add_nc_u32_e32 v1, 0x1500, v179
	ds_load_2addr_b64 v[16:19], v0 offset0:12 offset1:250
	ds_load_2addr_b64 v[0:3], v1 offset0:8 offset1:246
.LBB0_14:
	s_wait_alu 0xfffe
	s_or_b32 exec_lo, exec_lo, s4
	v_add_f64_e64 v[146:147], v[44:45], -v[4:5]
	s_mov_b32 s24, 0x2a9d6da3
	s_mov_b32 s46, 0x7c9e640b
	;; [unrolled: 1-line block ×8, first 2 shown]
	v_add_f64_e32 v[118:119], v[46:47], v[6:7]
	v_add_f64_e64 v[160:161], v[48:49], -v[8:9]
	s_mov_b32 s16, 0x75d4884
	s_mov_b32 s4, 0x3259b75e
	;; [unrolled: 1-line block ×12, first 2 shown]
	v_add_f64_e32 v[132:133], v[50:51], v[10:11]
	v_add_f64_e64 v[168:169], v[64:65], -v[12:13]
	s_mov_b32 s20, 0x7faef3
	s_mov_b32 s22, 0x910ea3b9
	s_mov_b32 s21, 0xbfef7484
	s_mov_b32 s23, 0xbfeb34fa
	s_mov_b32 s39, 0x3fc7851a
	s_mov_b32 s51, 0x3feec746
	s_mov_b32 s35, 0x3fe58eea
	s_wait_alu 0xfffe
	s_mov_b32 s38, s26
	s_mov_b32 s50, s18
	;; [unrolled: 1-line block ×3, first 2 shown]
	v_add_f64_e32 v[134:135], v[14:15], v[66:67]
	v_add_f64_e64 v[148:149], v[72:73], -v[20:21]
	s_mov_b32 s52, 0x5d8e7cdc
	v_mul_f64_e32 v[162:163], s[24:25], v[146:147]
	v_mul_f64_e32 v[158:159], s[46:47], v[146:147]
	;; [unrolled: 1-line block ×4, first 2 shown]
	s_mov_b32 s53, 0x3fd71e95
	v_add_f64_e32 v[120:121], v[22:23], v[74:75]
	v_add_f64_e64 v[144:145], v[56:57], -v[24:25]
	s_mov_b32 s40, 0x370991
	s_mov_b32 s41, 0x3fedd6d0
	v_add_f64_e64 v[130:131], v[68:69], -v[28:29]
	v_mul_f64_e32 v[170:171], s[44:45], v[160:161]
	v_mul_f64_e32 v[172:173], s[36:37], v[160:161]
	;; [unrolled: 1-line block ×4, first 2 shown]
	s_mov_b32 s49, 0xbfd71e95
	s_wait_alu 0xfffe
	s_mov_b32 s48, s52
	v_add_f64_e64 v[114:115], v[60:61], -v[36:37]
	s_mov_b32 s43, 0x3feca52d
	s_mov_b32 s55, 0x3fe9895b
	;; [unrolled: 1-line block ×4, first 2 shown]
	global_wb scope:SCOPE_SE
	s_wait_dscnt 0x0
	s_barrier_signal -1
	s_barrier_wait -1
	v_mul_f64_e32 v[150:151], s[36:37], v[168:169]
	v_mul_f64_e32 v[152:153], s[38:39], v[168:169]
	;; [unrolled: 1-line block ×4, first 2 shown]
	s_mov_b32 s39, 0x3fefdd0d
	s_mov_b32 s38, s44
	global_inv scope:SCOPE_SE
	v_mul_f64_e32 v[136:137], s[26:27], v[148:149]
	v_mul_f64_e32 v[138:139], s[50:51], v[148:149]
	v_fma_f64 v[4:5], v[118:119], s[16:17], -v[162:163]
	v_fma_f64 v[8:9], v[118:119], s[10:11], -v[158:159]
	;; [unrolled: 1-line block ×4, first 2 shown]
	v_mul_f64_e32 v[140:141], s[52:53], v[148:149]
	v_mul_f64_e32 v[142:143], s[46:47], v[148:149]
	;; [unrolled: 1-line block ×6, first 2 shown]
	v_fma_f64 v[20:21], v[132:133], s[4:5], -v[170:171]
	v_fma_f64 v[44:45], v[132:133], s[28:29], -v[172:173]
	;; [unrolled: 1-line block ×4, first 2 shown]
	s_mov_b32 s31, 0xbfe0d888
	v_mul_f64_e32 v[60:61], s[50:51], v[130:131]
	s_wait_alu 0xfffe
	v_mul_f64_e32 v[68:69], s[48:49], v[130:131]
	v_mul_f64_e32 v[116:117], s[30:31], v[130:131]
	;; [unrolled: 1-line block ×3, first 2 shown]
	v_fma_f64 v[24:25], v[134:135], s[28:29], -v[150:151]
	v_fma_f64 v[56:57], v[134:135], s[20:21], -v[152:153]
	;; [unrolled: 1-line block ×5, first 2 shown]
	v_add_f64_e32 v[4:5], v[4:5], v[34:35]
	v_add_f64_e32 v[8:9], v[8:9], v[34:35]
	;; [unrolled: 1-line block ×4, first 2 shown]
	s_delay_alu instid0(VALU_DEP_4) | instskip(NEXT) | instid1(VALU_DEP_4)
	v_add_f64_e32 v[4:5], v[20:21], v[4:5]
	v_add_f64_e32 v[8:9], v[44:45], v[8:9]
	s_delay_alu instid0(VALU_DEP_4) | instskip(NEXT) | instid1(VALU_DEP_4)
	v_add_f64_e32 v[12:13], v[48:49], v[12:13]
	v_add_f64_e32 v[20:21], v[64:65], v[32:33]
	;; [unrolled: 1-line block ×3, first 2 shown]
	v_fma_f64 v[32:33], v[120:121], s[12:13], -v[138:139]
	v_fma_f64 v[44:45], v[120:121], s[40:41], -v[140:141]
	;; [unrolled: 1-line block ×3, first 2 shown]
	v_add_f64_e32 v[4:5], v[24:25], v[4:5]
	v_add_f64_e32 v[8:9], v[56:57], v[8:9]
	;; [unrolled: 1-line block ×5, first 2 shown]
	v_mul_f64_e32 v[72:73], s[38:39], v[130:131]
	v_fma_f64 v[24:25], v[64:65], s[22:23], -v[122:123]
	v_fma_f64 v[96:97], v[64:65], s[16:17], -v[124:125]
	;; [unrolled: 1-line block ×4, first 2 shown]
	v_add_f64_e32 v[28:29], v[28:29], v[4:5]
	v_add_f64_e32 v[8:9], v[32:33], v[8:9]
	;; [unrolled: 1-line block ×5, first 2 shown]
	v_add_f64_e64 v[48:49], v[52:53], -v[40:41]
	v_mul_f64_e32 v[32:33], s[42:43], v[114:115]
	v_mul_f64_e32 v[40:41], s[54:55], v[114:115]
	;; [unrolled: 1-line block ×3, first 2 shown]
	v_fma_f64 v[52:53], v[56:57], s[12:13], -v[60:61]
	v_fma_f64 v[102:103], v[56:57], s[40:41], -v[68:69]
	v_fma_f64 v[181:182], v[56:57], s[4:5], -v[72:73]
	v_fma_f64 v[183:184], v[56:57], s[22:23], -v[116:117]
	v_add_f64_e32 v[185:186], v[24:25], v[28:29]
	v_add_f64_e32 v[96:97], v[96:97], v[8:9]
	;; [unrolled: 1-line block ×5, first 2 shown]
	v_mul_f64_e32 v[12:13], s[52:53], v[48:49]
	v_mul_f64_e32 v[20:21], s[34:35], v[48:49]
	v_mul_f64_e32 v[24:25], s[36:37], v[48:49]
	v_mul_f64_e32 v[28:29], s[30:31], v[48:49]
	v_fma_f64 v[187:188], v[4:5], s[10:11], -v[32:33]
	v_fma_f64 v[189:190], v[4:5], s[4:5], -v[36:37]
	;; [unrolled: 1-line block ×4, first 2 shown]
	v_add_f64_e32 v[52:53], v[52:53], v[185:186]
	v_add_f64_e32 v[96:97], v[102:103], v[96:97]
	;; [unrolled: 1-line block ×4, first 2 shown]
	v_fma_f64 v[102:103], v[8:9], s[40:41], -v[12:13]
	v_fma_f64 v[181:182], v[8:9], s[16:17], -v[20:21]
	;; [unrolled: 1-line block ×4, first 2 shown]
	v_add_f64_e32 v[52:53], v[187:188], v[52:53]
	v_add_f64_e32 v[96:97], v[189:190], v[96:97]
	;; [unrolled: 1-line block ×4, first 2 shown]
	s_delay_alu instid0(VALU_DEP_4) | instskip(NEXT) | instid1(VALU_DEP_4)
	v_add_f64_e32 v[102:103], v[102:103], v[52:53]
	v_add_f64_e32 v[100:101], v[185:186], v[96:97]
	s_delay_alu instid0(VALU_DEP_4) | instskip(NEXT) | instid1(VALU_DEP_4)
	v_add_f64_e32 v[98:99], v[181:182], v[98:99]
	v_add_f64_e32 v[96:97], v[183:184], v[187:188]
	s_and_saveexec_b32 s33, s0
	s_cbranch_execz .LBB0_16
; %bb.15:
	v_add_f64_e32 v[46:47], v[46:47], v[34:35]
	v_mul_f64_e32 v[52:53], s[16:17], v[118:119]
	v_mul_f64_e32 v[183:184], s[4:5], v[132:133]
	;; [unrolled: 1-line block ×18, first 2 shown]
	v_add_f64_e32 v[46:47], v[50:51], v[46:47]
	v_mul_f64_e32 v[50:51], s[48:49], v[146:147]
	v_add_f64_e32 v[52:53], v[52:53], v[162:163]
	v_add_f64_e32 v[170:171], v[183:184], v[170:171]
	;; [unrolled: 1-line block ×4, first 2 shown]
	v_fma_f64 v[205:206], v[132:133], s[16:17], v[181:182]
	v_fma_f64 v[181:182], v[132:133], s[16:17], -v[181:182]
	v_add_f64_e32 v[172:173], v[185:186], v[172:173]
	v_fma_f64 v[183:184], v[132:133], s[12:13], v[191:192]
	v_fma_f64 v[185:186], v[132:133], s[12:13], -v[191:192]
	v_fma_f64 v[187:188], v[132:133], s[10:11], v[193:194]
	v_fma_f64 v[189:190], v[132:133], s[10:11], -v[193:194]
	;; [unrolled: 2-line block ×3, first 2 shown]
	v_mul_f64_e32 v[193:194], s[40:41], v[120:121]
	v_fma_f64 v[213:214], v[134:135], s[10:11], v[199:200]
	v_fma_f64 v[199:200], v[134:135], s[10:11], -v[199:200]
	v_add_f64_e32 v[46:47], v[66:67], v[46:47]
	v_mul_f64_e32 v[66:67], s[12:13], v[118:119]
	v_fma_f64 v[195:196], v[118:119], s[40:41], v[50:51]
	v_fma_f64 v[50:51], v[118:119], s[40:41], -v[50:51]
	v_add_f64_e32 v[52:53], v[52:53], v[34:35]
	v_add_f64_e32 v[46:47], v[74:75], v[46:47]
	v_mul_f64_e32 v[74:75], s[30:31], v[146:147]
	v_add_f64_e32 v[66:67], v[66:67], v[166:167]
	v_add_f64_e32 v[160:161], v[195:196], v[34:35]
	v_mul_f64_e32 v[195:196], s[10:11], v[120:121]
	v_add_f64_e32 v[52:53], v[170:171], v[52:53]
	v_mul_f64_e32 v[170:171], s[20:21], v[64:65]
	;; [unrolled: 2-line block ×3, first 2 shown]
	v_add_f64_e32 v[66:67], v[66:67], v[34:35]
	v_add_f64_e32 v[160:161], v[205:206], v[160:161]
	s_delay_alu instid0(VALU_DEP_4)
	v_add_f64_e32 v[46:47], v[70:71], v[46:47]
	v_mul_f64_e32 v[70:71], s[36:37], v[146:147]
	v_mul_f64_e32 v[146:147], s[26:27], v[146:147]
	v_add_f64_e32 v[58:59], v[58:59], v[164:165]
	v_fma_f64 v[164:165], v[118:119], s[22:23], v[74:75]
	v_fma_f64 v[74:75], v[118:119], s[22:23], -v[74:75]
	v_add_f64_e32 v[66:67], v[176:177], v[66:67]
	v_mul_f64_e32 v[176:177], s[48:49], v[144:145]
	v_add_f64_e32 v[46:47], v[62:63], v[46:47]
	v_mul_f64_e32 v[62:63], s[10:11], v[118:119]
	v_fma_f64 v[162:163], v[118:119], s[28:29], v[70:71]
	v_fma_f64 v[70:71], v[118:119], s[28:29], -v[70:71]
	v_fma_f64 v[166:167], v[118:119], s[20:21], v[146:147]
	v_fma_f64 v[146:147], v[118:119], s[20:21], -v[146:147]
	v_mul_f64_e32 v[118:119], s[20:21], v[134:135]
	v_add_f64_e32 v[58:59], v[58:59], v[34:35]
	v_add_f64_e32 v[164:165], v[164:165], v[34:35]
	;; [unrolled: 1-line block ×5, first 2 shown]
	v_mul_f64_e32 v[62:63], s[28:29], v[134:135]
	v_mul_f64_e32 v[158:159], s[12:13], v[134:135]
	v_add_f64_e32 v[162:163], v[162:163], v[34:35]
	v_add_f64_e32 v[70:71], v[70:71], v[34:35]
	;; [unrolled: 1-line block ×7, first 2 shown]
	v_fma_f64 v[156:157], v[134:135], s[40:41], -v[201:202]
	v_add_f64_e32 v[164:165], v[187:188], v[164:165]
	v_fma_f64 v[197:198], v[134:135], s[4:5], -v[203:204]
	v_add_f64_e32 v[74:75], v[189:190], v[74:75]
	v_mul_f64_e32 v[174:175], s[38:39], v[144:145]
	v_fma_f64 v[187:188], v[120:121], s[28:29], -v[211:212]
	v_fma_f64 v[189:190], v[120:121], s[16:17], v[148:149]
	v_add_f64_e32 v[42:43], v[42:43], v[46:47]
	v_add_f64_e32 v[46:47], v[54:55], v[34:35]
	;; [unrolled: 1-line block ×3, first 2 shown]
	v_mul_f64_e32 v[50:51], s[20:21], v[120:121]
	v_mul_f64_e32 v[54:55], s[12:13], v[120:121]
	v_add_f64_e32 v[62:63], v[62:63], v[150:151]
	v_add_f64_e32 v[150:151], v[158:159], v[154:155]
	v_fma_f64 v[154:155], v[134:135], s[40:41], v[201:202]
	v_fma_f64 v[158:159], v[134:135], s[4:5], v[203:204]
	v_add_f64_e32 v[162:163], v[183:184], v[162:163]
	v_add_f64_e32 v[70:71], v[185:186], v[70:71]
	v_fma_f64 v[201:202], v[134:135], s[22:23], v[168:169]
	v_fma_f64 v[134:135], v[134:135], s[22:23], -v[168:169]
	v_add_f64_e32 v[166:167], v[191:192], v[166:167]
	v_add_f64_e32 v[132:133], v[132:133], v[146:147]
	v_mul_f64_e32 v[146:147], s[16:17], v[64:65]
	v_mul_f64_e32 v[168:169], s[10:11], v[64:65]
	v_fma_f64 v[183:184], v[120:121], s[4:5], -v[207:208]
	v_fma_f64 v[185:186], v[120:121], s[28:29], v[211:212]
	v_add_f64_e32 v[74:75], v[197:198], v[74:75]
	v_add_f64_e32 v[38:39], v[38:39], v[42:43]
	;; [unrolled: 1-line block ×4, first 2 shown]
	v_mul_f64_e32 v[46:47], s[22:23], v[64:65]
	v_add_f64_e32 v[50:51], v[50:51], v[136:137]
	v_add_f64_e32 v[54:55], v[54:55], v[138:139]
	;; [unrolled: 1-line block ×7, first 2 shown]
	v_mul_f64_e32 v[172:173], s[18:19], v[144:145]
	v_mul_f64_e32 v[144:145], s[36:37], v[144:145]
	v_fma_f64 v[181:182], v[120:121], s[4:5], v[207:208]
	v_fma_f64 v[140:141], v[120:121], s[22:23], v[209:210]
	v_fma_f64 v[142:143], v[120:121], s[22:23], -v[209:210]
	v_fma_f64 v[120:121], v[120:121], s[16:17], -v[148:149]
	v_add_f64_e32 v[148:149], v[213:214], v[160:161]
	v_add_f64_e32 v[66:67], v[154:155], v[162:163]
	;; [unrolled: 1-line block ×6, first 2 shown]
	v_mul_f64_e32 v[134:135], s[22:23], v[56:57]
	v_mul_f64_e32 v[154:155], s[4:5], v[56:57]
	;; [unrolled: 1-line block ×6, first 2 shown]
	v_fma_f64 v[166:167], v[64:65], s[40:41], v[176:177]
	v_add_f64_e32 v[74:75], v[187:188], v[74:75]
	v_add_f64_e32 v[30:31], v[30:31], v[38:39]
	;; [unrolled: 1-line block ×4, first 2 shown]
	v_mul_f64_e32 v[42:43], s[12:13], v[56:57]
	v_mul_f64_e32 v[118:119], s[40:41], v[56:57]
	v_add_f64_e32 v[46:47], v[46:47], v[122:123]
	v_add_f64_e32 v[122:123], v[146:147], v[124:125]
	;; [unrolled: 1-line block ×7, first 2 shown]
	v_fma_f64 v[162:163], v[64:65], s[12:13], v[172:173]
	v_fma_f64 v[164:165], v[64:65], s[12:13], -v[172:173]
	v_fma_f64 v[128:129], v[64:65], s[4:5], v[174:175]
	v_fma_f64 v[146:147], v[64:65], s[4:5], -v[174:175]
	v_fma_f64 v[168:169], v[64:65], s[40:41], -v[176:177]
	v_fma_f64 v[170:171], v[64:65], s[28:29], v[144:145]
	v_fma_f64 v[64:65], v[64:65], s[28:29], -v[144:145]
	v_add_f64_e32 v[144:145], v[181:182], v[148:149]
	v_add_f64_e32 v[62:63], v[140:141], v[66:67]
	;; [unrolled: 1-line block ×6, first 2 shown]
	v_mul_f64_e32 v[132:133], s[28:29], v[4:5]
	v_mul_f64_e32 v[138:139], s[40:41], v[4:5]
	v_add_f64_e32 v[72:73], v[154:155], v[72:73]
	v_mul_f64_e32 v[140:141], s[30:31], v[114:115]
	v_mul_f64_e32 v[142:143], s[26:27], v[114:115]
	;; [unrolled: 1-line block ×4, first 2 shown]
	v_fma_f64 v[150:151], v[56:57], s[28:29], v[156:157]
	v_fma_f64 v[152:153], v[56:57], s[28:29], -v[156:157]
	v_fma_f64 v[154:155], v[56:57], s[20:21], -v[160:161]
	v_fma_f64 v[156:157], v[56:57], s[10:11], v[130:131]
	v_add_f64_e32 v[26:27], v[26:27], v[30:31]
	v_add_f64_e32 v[30:31], v[54:55], v[38:39]
	;; [unrolled: 1-line block ×3, first 2 shown]
	v_mul_f64_e32 v[38:39], s[10:11], v[4:5]
	v_add_f64_e32 v[42:43], v[42:43], v[60:61]
	v_add_f64_e32 v[60:61], v[118:119], v[68:69]
	;; [unrolled: 1-line block ×3, first 2 shown]
	v_mul_f64_e32 v[54:55], s[4:5], v[4:5]
	v_fma_f64 v[116:117], v[56:57], s[16:17], v[158:159]
	v_add_f64_e32 v[46:47], v[46:47], v[50:51]
	v_add_f64_e32 v[50:51], v[124:125], v[52:53]
	;; [unrolled: 1-line block ×3, first 2 shown]
	v_fma_f64 v[118:119], v[56:57], s[16:17], -v[158:159]
	v_fma_f64 v[134:135], v[56:57], s[20:21], v[160:161]
	v_fma_f64 v[56:57], v[56:57], s[10:11], -v[130:131]
	v_mul_f64_e32 v[124:125], s[28:29], v[8:9]
	v_add_f64_e32 v[74:75], v[168:169], v[74:75]
	v_mul_f64_e32 v[126:127], s[26:27], v[48:49]
	v_add_f64_e32 v[130:131], v[162:163], v[144:145]
	v_add_f64_e32 v[58:59], v[128:129], v[62:63]
	;; [unrolled: 1-line block ×6, first 2 shown]
	v_mul_f64_e32 v[128:129], s[42:43], v[48:49]
	v_mul_f64_e32 v[136:137], s[18:19], v[48:49]
	;; [unrolled: 1-line block ×3, first 2 shown]
	v_fma_f64 v[144:145], v[4:5], s[22:23], v[140:141]
	v_fma_f64 v[140:141], v[4:5], s[22:23], -v[140:141]
	v_mul_f64_e32 v[120:121], s[22:23], v[8:9]
	v_add_f64_e32 v[22:23], v[22:23], v[26:27]
	v_add_f64_e32 v[26:27], v[122:123], v[30:31]
	v_add_f64_e32 v[30:31], v[164:165], v[34:35]
	v_mul_f64_e32 v[122:123], s[16:17], v[8:9]
	v_add_f64_e32 v[32:33], v[38:39], v[32:33]
	v_add_f64_e32 v[38:39], v[132:133], v[40:41]
	v_add_f64_e32 v[40:41], v[138:139], v[44:45]
	;; [unrolled: 4-line block ×3, first 2 shown]
	v_add_f64_e32 v[50:51], v[72:73], v[52:53]
	v_fma_f64 v[44:45], v[4:5], s[20:21], v[142:143]
	v_fma_f64 v[54:55], v[4:5], s[20:21], -v[142:143]
	v_fma_f64 v[132:133], v[4:5], s[16:17], v[148:149]
	v_fma_f64 v[138:139], v[4:5], s[16:17], -v[148:149]
	;; [unrolled: 2-line block ×3, first 2 shown]
	v_add_f64_e32 v[24:25], v[124:125], v[24:25]
	v_add_f64_e32 v[114:115], v[150:151], v[130:131]
	;; [unrolled: 1-line block ×8, first 2 shown]
	v_fma_f64 v[68:69], v[8:9], s[10:11], -v[128:129]
	v_fma_f64 v[70:71], v[8:9], s[12:13], v[136:137]
	v_fma_f64 v[72:73], v[8:9], s[12:13], -v[136:137]
	v_fma_f64 v[74:75], v[8:9], s[4:5], v[48:49]
	v_add_f64_e32 v[28:29], v[120:121], v[28:29]
	v_add_f64_e32 v[14:15], v[14:15], v[22:23]
	;; [unrolled: 1-line block ×5, first 2 shown]
	v_fma_f64 v[30:31], v[8:9], s[20:21], v[126:127]
	v_fma_f64 v[60:61], v[8:9], s[20:21], -v[126:127]
	v_add_f64_e32 v[12:13], v[34:35], v[12:13]
	v_fma_f64 v[34:35], v[8:9], s[10:11], v[128:129]
	v_fma_f64 v[8:9], v[8:9], s[4:5], -v[48:49]
	v_add_f64_e32 v[38:39], v[38:39], v[46:47]
	v_add_f64_e32 v[40:41], v[40:41], v[50:51]
	;; [unrolled: 1-line block ×26, first 2 shown]
	v_lshlrev_b32_e32 v22, 7, v106
	s_delay_alu instid0(VALU_DEP_1)
	v_add3_u32 v22, v107, v22, v180
	ds_store_2addr_b64 v22, v[96:97], v[98:99] offset0:12 offset1:13
	ds_store_2addr_b64 v22, v[100:101], v[102:103] offset0:14 offset1:15
	ds_store_2addr_b64 v22, v[20:21], v[24:25] offset0:4 offset1:5
	ds_store_2addr_b64 v22, v[30:31], v[34:35] offset0:6 offset1:7
	ds_store_2addr_b64 v22, v[36:37], v[4:5] offset0:8 offset1:9
	ds_store_2addr_b64 v22, v[8:9], v[32:33] offset0:10 offset1:11
	ds_store_2addr_b64 v22, v[6:7], v[26:27] offset1:1
	ds_store_2addr_b64 v22, v[12:13], v[10:11] offset0:2 offset1:3
	ds_store_b64 v22, v[14:15] offset:128
.LBB0_16:
	s_or_b32 exec_lo, exec_lo, s33
	v_add_nc_u32_e32 v4, 0x400, v179
	v_add_nc_u32_e32 v5, 0x800, v179
	;; [unrolled: 1-line block ×4, first 2 shown]
	global_wb scope:SCOPE_SE
	s_wait_dscnt 0x0
	s_barrier_signal -1
	s_barrier_wait -1
	global_inv scope:SCOPE_SE
	ds_load_2addr_b64 v[28:31], v4 offset0:110 offset1:178
	ds_load_2addr_b64 v[8:11], v5 offset0:118 offset1:220
	;; [unrolled: 1-line block ×5, first 2 shown]
	ds_load_b64 v[44:45], v178
	ds_load_b64 v[46:47], v179 offset:6800
	s_add_nc_u64 s[2:3], s[14:15], s[2:3]
	s_and_saveexec_b32 s0, s1
	s_cbranch_execz .LBB0_18
; %bb.17:
	v_add_nc_u32_e32 v20, 0x600, v179
	v_add_nc_u32_e32 v21, 0x1500, v179
	ds_load_2addr_b64 v[96:99], v20 offset0:12 offset1:250
	ds_load_2addr_b64 v[100:103], v21 offset0:8 offset1:246
.LBB0_18:
	s_wait_alu 0xfffe
	s_or_b32 exec_lo, exec_lo, s0
	v_add_nc_u32_e32 v60, 0x44, v106
	v_and_b32_e32 v20, 0xff, v106
	v_add_nc_u16 v61, v106, 0x88
	v_add_nc_u32_e32 v62, 0xcc, v106
	s_delay_alu instid0(VALU_DEP_4) | instskip(NEXT) | instid1(VALU_DEP_4)
	v_and_b32_e32 v21, 0xff, v60
	v_mul_lo_u16 v20, 0xf1, v20
	s_delay_alu instid0(VALU_DEP_4) | instskip(NEXT) | instid1(VALU_DEP_3)
	v_and_b32_e32 v64, 0xff, v61
	v_mul_lo_u16 v21, 0xf1, v21
	s_delay_alu instid0(VALU_DEP_3) | instskip(NEXT) | instid1(VALU_DEP_3)
	v_lshrrev_b16 v75, 12, v20
	v_mul_lo_u16 v20, 0xf1, v64
	s_delay_alu instid0(VALU_DEP_3) | instskip(NEXT) | instid1(VALU_DEP_3)
	v_lshrrev_b16 v107, 12, v21
	;; [unrolled: 3-line block ×3, first 2 shown]
	v_mul_lo_u16 v20, v107, 17
	s_delay_alu instid0(VALU_DEP_3) | instskip(NEXT) | instid1(VALU_DEP_3)
	v_sub_nc_u16 v21, v106, v21
	v_mul_lo_u16 v22, v142, 17
	s_delay_alu instid0(VALU_DEP_3) | instskip(NEXT) | instid1(VALU_DEP_3)
	v_sub_nc_u16 v20, v60, v20
	v_and_b32_e32 v143, 0xff, v21
	s_delay_alu instid0(VALU_DEP_3) | instskip(NEXT) | instid1(VALU_DEP_3)
	v_sub_nc_u16 v21, v61, v22
	v_and_b32_e32 v144, 0xff, v20
	s_delay_alu instid0(VALU_DEP_3) | instskip(NEXT) | instid1(VALU_DEP_3)
	v_mul_u32_u24_e32 v20, 3, v143
	v_and_b32_e32 v145, 0xff, v21
	s_delay_alu instid0(VALU_DEP_3) | instskip(NEXT) | instid1(VALU_DEP_3)
	v_mul_u32_u24_e32 v21, 3, v144
	v_lshlrev_b32_e32 v20, 4, v20
	s_delay_alu instid0(VALU_DEP_3)
	v_mul_u32_u24_e32 v22, 3, v145
	s_clause 0x1
	global_load_b128 v[24:27], v20, s[8:9] offset:16
	global_load_b128 v[48:51], v20, s[8:9]
	v_lshlrev_b32_e32 v21, 4, v21
	v_lshlrev_b32_e32 v22, 4, v22
	s_clause 0x6
	global_load_b128 v[52:55], v20, s[8:9] offset:32
	global_load_b128 v[56:59], v21, s[8:9]
	global_load_b128 v[32:35], v21, s[8:9] offset:16
	global_load_b128 v[65:68], v21, s[8:9] offset:32
	global_load_b128 v[69:72], v22, s[8:9]
	global_load_b128 v[40:43], v22, s[8:9] offset:16
	global_load_b128 v[114:117], v22, s[8:9] offset:32
	v_and_b32_e32 v20, 0xffff, v62
	s_delay_alu instid0(VALU_DEP_1) | instskip(NEXT) | instid1(VALU_DEP_1)
	v_mul_u32_u24_e32 v63, 0xf0f1, v20
	v_lshrrev_b32_e32 v20, 20, v63
	s_delay_alu instid0(VALU_DEP_1) | instskip(NEXT) | instid1(VALU_DEP_1)
	v_mul_lo_u16 v20, v20, 17
	v_sub_nc_u16 v20, v62, v20
	s_delay_alu instid0(VALU_DEP_1) | instskip(NEXT) | instid1(VALU_DEP_1)
	v_and_b32_e32 v146, 0xffff, v20
	v_mul_u32_u24_e32 v20, 3, v146
	s_delay_alu instid0(VALU_DEP_1)
	v_lshlrev_b32_e32 v20, 4, v20
	s_clause 0x2
	global_load_b128 v[118:121], v20, s[8:9]
	global_load_b128 v[122:125], v20, s[8:9] offset:32
	global_load_b128 v[20:23], v20, s[8:9] offset:16
	s_load_b64 s[2:3], s[2:3], 0x0
	global_wb scope:SCOPE_SE
	s_wait_loadcnt_dscnt 0x0
	s_wait_kmcnt 0x0
	s_barrier_signal -1
	s_barrier_wait -1
	global_inv scope:SCOPE_SE
	v_mul_f64_e32 v[128:129], v[36:37], v[54:55]
	v_mul_f64_e32 v[73:74], v[28:29], v[50:51]
	;; [unrolled: 1-line block ×15, first 2 shown]
	v_fma_f64 v[92:93], v[92:93], v[52:53], -v[128:129]
	v_fma_f64 v[73:74], v[88:89], v[48:49], -v[73:74]
	;; [unrolled: 1-line block ×9, first 2 shown]
	v_fma_f64 v[28:29], v[28:29], v[48:49], v[50:51]
	v_fma_f64 v[36:37], v[36:37], v[52:53], v[54:55]
	;; [unrolled: 1-line block ×6, first 2 shown]
	v_mul_f64_e32 v[71:72], v[98:99], v[120:121]
	v_add_f64_e64 v[48:49], v[73:74], -v[92:93]
	v_add_f64_e64 v[65:66], v[110:111], -v[88:89]
	v_mul_f64_e32 v[88:89], v[18:19], v[120:121]
	v_add_f64_e64 v[67:68], v[84:85], -v[126:127]
	v_add_f64_e64 v[50:51], v[90:91], -v[94:95]
	;; [unrolled: 3-line block ×3, first 2 shown]
	v_add_f64_e64 v[56:57], v[28:29], -v[36:37]
	v_add_f64_e64 v[58:59], v[30:31], -v[38:39]
	;; [unrolled: 1-line block ×3, first 2 shown]
	v_fma_f64 v[18:19], v[18:19], v[118:119], -v[71:72]
	v_fma_f64 v[46:47], v[73:74], 2.0, -v[48:49]
	v_fma_f64 v[38:39], v[110:111], 2.0, -v[65:66]
	v_fma_f64 v[36:37], v[98:99], v[118:119], v[88:89]
	v_fma_f64 v[73:74], v[84:85], 2.0, -v[67:68]
	v_fma_f64 v[84:85], v[90:91], 2.0, -v[50:51]
	v_mul_f64_e32 v[90:91], v[102:103], v[124:125]
	v_fma_f64 v[86:87], v[86:87], 2.0, -v[69:70]
	v_fma_f64 v[80:81], v[80:81], 2.0, -v[52:53]
	v_add_f64_e64 v[71:72], v[65:66], -v[56:57]
	v_add_f64_e64 v[88:89], v[67:68], -v[58:59]
	;; [unrolled: 1-line block ×4, first 2 shown]
	v_fma_f64 v[46:47], v[102:103], v[122:123], v[92:93]
	v_add_f64_e64 v[84:85], v[73:74], -v[84:85]
	v_fma_f64 v[2:3], v[2:3], v[122:123], -v[90:91]
	v_add_f64_e64 v[80:81], v[86:87], -v[80:81]
	v_fma_f64 v[90:91], v[65:66], 2.0, -v[71:72]
	v_and_b32_e32 v65, 0xffff, v142
	v_fma_f64 v[92:93], v[67:68], 2.0, -v[88:89]
	v_lshlrev_b32_e32 v67, 3, v143
	v_fma_f64 v[110:111], v[69:70], 2.0, -v[98:99]
	v_lshlrev_b32_e32 v69, 3, v144
	v_mad_u32_u24 v70, 0x220, v65, 0
	v_and_b32_e32 v66, 0xff, v62
	v_lshlrev_b32_e32 v65, 3, v146
	v_fma_f64 v[102:103], v[38:39], 2.0, -v[94:95]
	v_add_f64_e64 v[46:47], v[36:37], -v[46:47]
	v_fma_f64 v[73:74], v[73:74], 2.0, -v[84:85]
	v_add_f64_e64 v[38:39], v[18:19], -v[2:3]
	v_and_b32_e32 v2, 0xffff, v75
	v_fma_f64 v[86:87], v[86:87], 2.0, -v[80:81]
	v_and_b32_e32 v3, 0xffff, v107
	v_lshlrev_b32_e32 v75, 3, v145
	s_delay_alu instid0(VALU_DEP_4) | instskip(NEXT) | instid1(VALU_DEP_3)
	v_mad_u32_u24 v2, 0x220, v2, 0
	v_mad_u32_u24 v3, 0x220, v3, 0
	s_delay_alu instid0(VALU_DEP_2) | instskip(NEXT) | instid1(VALU_DEP_4)
	v_add3_u32 v68, v2, v67, v180
	v_add3_u32 v67, v70, v75, v180
	s_delay_alu instid0(VALU_DEP_3)
	v_add3_u32 v69, v3, v69, v180
	ds_store_2addr_b64 v68, v[94:95], v[71:72] offset0:34 offset1:51
	ds_store_2addr_b64 v68, v[102:103], v[90:91] offset1:17
	ds_store_2addr_b64 v69, v[84:85], v[88:89] offset0:34 offset1:51
	ds_store_2addr_b64 v69, v[73:74], v[92:93] offset1:17
	ds_store_2addr_b64 v67, v[86:87], v[110:111] offset1:17
	ds_store_2addr_b64 v67, v[80:81], v[98:99] offset0:34 offset1:51
	s_and_saveexec_b32 s0, s1
	s_cbranch_execz .LBB0_20
; %bb.19:
	v_mul_f64_e32 v[2:3], v[100:101], v[22:23]
	v_fma_f64 v[18:19], v[18:19], 2.0, -v[38:39]
	v_mul_lo_u16 v72, 0xf1, v66
	s_delay_alu instid0(VALU_DEP_1) | instskip(NEXT) | instid1(VALU_DEP_1)
	v_lshrrev_b16 v72, 12, v72
	v_and_b32_e32 v72, 0xffff, v72
	s_delay_alu instid0(VALU_DEP_1) | instskip(NEXT) | instid1(VALU_DEP_1)
	v_mad_u32_u24 v72, 0x220, v72, 0
	v_add3_u32 v72, v72, v65, v180
	v_fma_f64 v[2:3], v[0:1], v[20:21], -v[2:3]
	s_delay_alu instid0(VALU_DEP_1) | instskip(NEXT) | instid1(VALU_DEP_1)
	v_add_f64_e64 v[2:3], v[16:17], -v[2:3]
	v_fma_f64 v[16:17], v[16:17], 2.0, -v[2:3]
	v_add_f64_e64 v[70:71], v[2:3], -v[46:47]
	s_delay_alu instid0(VALU_DEP_2) | instskip(NEXT) | instid1(VALU_DEP_2)
	v_add_f64_e64 v[18:19], v[16:17], -v[18:19]
	v_fma_f64 v[2:3], v[2:3], 2.0, -v[70:71]
	s_delay_alu instid0(VALU_DEP_2)
	v_fma_f64 v[16:17], v[16:17], 2.0, -v[18:19]
	ds_store_2addr_b64 v72, v[16:17], v[2:3] offset1:17
	ds_store_2addr_b64 v72, v[18:19], v[70:71] offset0:34 offset1:51
.LBB0_20:
	s_wait_alu 0xfffe
	s_or_b32 exec_lo, exec_lo, s0
	v_mul_f64_e32 v[2:3], v[82:83], v[26:27]
	v_mul_f64_e32 v[16:17], v[76:77], v[34:35]
	;; [unrolled: 1-line block ×3, first 2 shown]
	v_fma_f64 v[8:9], v[8:9], 2.0, -v[54:55]
	v_add_nc_u32_e32 v43, 0x400, v179
	global_wb scope:SCOPE_SE
	s_wait_dscnt 0x0
	s_barrier_signal -1
	s_barrier_wait -1
	global_inv scope:SCOPE_SE
	v_add_nc_u32_e32 v42, 0x1400, v179
	v_fma_f64 v[2:3], v[10:11], v[24:25], v[2:3]
	v_fma_f64 v[10:11], v[12:13], v[32:33], v[16:17]
	;; [unrolled: 1-line block ×3, first 2 shown]
	v_fma_f64 v[14:15], v[28:29], 2.0, -v[56:57]
	v_fma_f64 v[16:17], v[30:31], 2.0, -v[58:59]
	v_add_nc_u32_e32 v40, 0xc00, v179
	v_add_nc_u32_e32 v41, 0x1000, v179
	v_add_f64_e64 v[2:3], v[44:45], -v[2:3]
	v_add_f64_e64 v[10:11], v[4:5], -v[10:11]
	;; [unrolled: 1-line block ×3, first 2 shown]
	s_delay_alu instid0(VALU_DEP_3) | instskip(NEXT) | instid1(VALU_DEP_3)
	v_fma_f64 v[18:19], v[44:45], 2.0, -v[2:3]
	v_fma_f64 v[4:5], v[4:5], 2.0, -v[10:11]
	s_delay_alu instid0(VALU_DEP_3)
	v_fma_f64 v[6:7], v[6:7], 2.0, -v[12:13]
	v_add_f64_e32 v[32:33], v[2:3], v[48:49]
	v_add_f64_e32 v[48:49], v[10:11], v[50:51]
	;; [unrolled: 1-line block ×3, first 2 shown]
	v_add_nc_u32_e32 v44, 0x800, v179
	v_add_f64_e64 v[50:51], v[18:19], -v[14:15]
	v_add_f64_e64 v[54:55], v[4:5], -v[16:17]
	;; [unrolled: 1-line block ×3, first 2 shown]
	v_fma_f64 v[58:59], v[2:3], 2.0, -v[32:33]
	v_fma_f64 v[70:71], v[10:11], 2.0, -v[48:49]
	;; [unrolled: 1-line block ×6, first 2 shown]
	ds_load_2addr_b64 v[2:5], v179 offset0:68 offset1:136
	ds_load_b64 v[18:19], v178
	ds_load_b64 v[34:35], v179 offset:7072
	ds_load_2addr_b64 v[28:31], v40 offset0:92 offset1:160
	ds_load_2addr_b64 v[14:17], v41 offset0:100 offset1:168
	;; [unrolled: 1-line block ×5, first 2 shown]
	global_wb scope:SCOPE_SE
	s_wait_dscnt 0x0
	s_barrier_signal -1
	s_barrier_wait -1
	global_inv scope:SCOPE_SE
	ds_store_2addr_b64 v68, v[50:51], v[32:33] offset0:34 offset1:51
	ds_store_2addr_b64 v68, v[72:73], v[58:59] offset1:17
	ds_store_2addr_b64 v69, v[74:75], v[70:71] offset1:17
	ds_store_2addr_b64 v69, v[54:55], v[48:49] offset0:34 offset1:51
	ds_store_2addr_b64 v67, v[78:79], v[76:77] offset1:17
	ds_store_2addr_b64 v67, v[56:57], v[52:53] offset0:34 offset1:51
	s_and_saveexec_b32 s0, s1
	s_cbranch_execz .LBB0_22
; %bb.21:
	v_mul_f64_e32 v[0:1], v[0:1], v[22:23]
	s_delay_alu instid0(VALU_DEP_1) | instskip(SKIP_2) | instid1(VALU_DEP_1)
	v_fma_f64 v[0:1], v[100:101], v[20:21], v[0:1]
	v_fma_f64 v[20:21], v[36:37], 2.0, -v[46:47]
	v_mul_lo_u16 v36, 0xf1, v66
	v_lshrrev_b16 v36, 12, v36
	s_delay_alu instid0(VALU_DEP_1) | instskip(NEXT) | instid1(VALU_DEP_1)
	v_and_b32_e32 v36, 0xffff, v36
	v_mad_u32_u24 v36, 0x220, v36, 0
	s_delay_alu instid0(VALU_DEP_1) | instskip(SKIP_1) | instid1(VALU_DEP_1)
	v_add3_u32 v36, v36, v65, v180
	v_add_f64_e64 v[0:1], v[96:97], -v[0:1]
	v_fma_f64 v[22:23], v[96:97], 2.0, -v[0:1]
	v_add_f64_e32 v[32:33], v[0:1], v[38:39]
	s_delay_alu instid0(VALU_DEP_2) | instskip(NEXT) | instid1(VALU_DEP_2)
	v_add_f64_e64 v[20:21], v[22:23], -v[20:21]
	v_fma_f64 v[0:1], v[0:1], 2.0, -v[32:33]
	s_delay_alu instid0(VALU_DEP_2)
	v_fma_f64 v[22:23], v[22:23], 2.0, -v[20:21]
	ds_store_2addr_b64 v36, v[22:23], v[0:1] offset1:17
	ds_store_2addr_b64 v36, v[20:21], v[32:33] offset0:34 offset1:51
.LBB0_22:
	s_wait_alu 0xfffe
	s_or_b32 exec_lo, exec_lo, s0
	v_dual_mov_b32 v107, 0 :: v_dual_add_nc_u32 v20, 0x110, v106
	v_add_nc_u32_e32 v21, 0x154, v106
	v_add_nc_u32_e32 v22, 0x198, v106
	v_mul_lo_u16 v23, 0x79, v64
	s_delay_alu instid0(VALU_DEP_4)
	v_and_b32_e32 v36, 0xffff, v20
	v_lshrrev_b32_e32 v39, 22, v63
	v_and_b32_e32 v37, 0xffff, v21
	v_and_b32_e32 v38, 0xffff, v22
	v_lshrrev_b16 v23, 13, v23
	v_mul_u32_u24_e32 v36, 0xf0f1, v36
	v_mul_lo_u16 v39, 0x44, v39
	v_mul_u32_u24_e32 v37, 0xf0f1, v37
	v_mul_u32_u24_e32 v38, 0xf0f1, v38
	v_lshlrev_b64_e32 v[32:33], 4, v[106:107]
	v_lshrrev_b32_e32 v36, 22, v36
	v_mul_lo_u16 v23, 0x44, v23
	v_lshrrev_b32_e32 v37, 22, v37
	v_lshrrev_b32_e32 v38, 22, v38
	v_sub_nc_u16 v39, v62, v39
	v_mul_lo_u16 v36, 0x44, v36
	v_sub_nc_u16 v23, v61, v23
	v_mul_lo_u16 v37, 0x44, v37
	v_mul_lo_u16 v38, 0x44, v38
	v_add_co_u32 v0, s0, s8, v32
	v_sub_nc_u16 v20, v20, v36
	s_delay_alu instid0(VALU_DEP_4)
	v_sub_nc_u16 v21, v21, v37
	s_wait_alu 0xf1ff
	v_add_co_ci_u32_e64 v1, s0, s9, v33, s0
	v_sub_nc_u16 v22, v22, v38
	v_and_b32_e32 v91, 0xffff, v39
	v_and_b32_e32 v59, 0xff, v23
	;; [unrolled: 1-line block ×4, first 2 shown]
	global_wb scope:SCOPE_SE
	s_wait_dscnt 0x0
	s_barrier_signal -1
	s_barrier_wait -1
	global_inv scope:SCOPE_SE
	v_and_b32_e32 v94, 0xffff, v22
	global_load_b128 v[20:23], v[0:1], off offset:816
	v_lshlrev_b32_e32 v36, 4, v91
	v_lshlrev_b32_e32 v45, 4, v59
	;; [unrolled: 1-line block ×5, first 2 shown]
	s_clause 0x4
	global_load_b128 v[36:39], v36, s[8:9] offset:816
	global_load_b128 v[45:48], v45, s[8:9] offset:816
	;; [unrolled: 1-line block ×5, first 2 shown]
	ds_load_2addr_b64 v[65:68], v40 offset0:92 offset1:160
	ds_load_2addr_b64 v[69:72], v41 offset0:100 offset1:168
	;; [unrolled: 1-line block ×3, first 2 shown]
	ds_load_b64 v[0:1], v179 offset:7072
	s_wait_loadcnt_dscnt 0x503
	v_mul_f64_e32 v[57:58], v[65:66], v[22:23]
	v_mul_f64_e32 v[77:78], v[67:68], v[22:23]
	s_wait_loadcnt_dscnt 0x402
	v_mul_f64_e32 v[79:80], v[71:72], v[38:39]
	s_wait_loadcnt 0x3
	v_mul_f64_e32 v[81:82], v[69:70], v[47:48]
	s_wait_loadcnt_dscnt 0x201
	v_mul_f64_e32 v[83:84], v[73:74], v[51:52]
	s_wait_loadcnt 0x1
	v_mul_f64_e32 v[85:86], v[75:76], v[55:56]
	s_wait_loadcnt_dscnt 0x0
	v_mul_f64_e32 v[87:88], v[0:1], v[63:64]
	v_mul_f64_e32 v[89:90], v[28:29], v[22:23]
	;; [unrolled: 1-line block ×8, first 2 shown]
	v_fma_f64 v[28:29], v[28:29], v[20:21], -v[57:58]
	v_fma_f64 v[30:31], v[30:31], v[20:21], -v[77:78]
	v_fma_f64 v[16:17], v[16:17], v[36:37], -v[79:80]
	v_fma_f64 v[14:15], v[14:15], v[45:46], -v[81:82]
	v_fma_f64 v[24:25], v[24:25], v[49:50], -v[83:84]
	v_fma_f64 v[26:27], v[26:27], v[53:54], -v[85:86]
	v_fma_f64 v[34:35], v[34:35], v[61:62], -v[87:88]
	v_fma_f64 v[57:58], v[65:66], v[20:21], v[89:90]
	v_fma_f64 v[65:66], v[67:68], v[20:21], v[22:23]
	;; [unrolled: 1-line block ×7, first 2 shown]
	v_lshlrev_b32_e32 v67, 3, v91
	v_add_f64_e64 v[28:29], v[18:19], -v[28:29]
	v_add_f64_e64 v[30:31], v[2:3], -v[30:31]
	;; [unrolled: 1-line block ×7, first 2 shown]
	ds_load_b64 v[61:62], v178
	ds_load_2addr_b64 v[14:17], v179 offset0:68 offset1:136
	ds_load_2addr_b64 v[20:23], v43 offset0:76 offset1:144
	;; [unrolled: 1-line block ×3, first 2 shown]
	global_wb scope:SCOPE_SE
	s_wait_dscnt 0x0
	s_barrier_signal -1
	s_barrier_wait -1
	global_inv scope:SCOPE_SE
	v_add_f64_e64 v[57:58], v[61:62], -v[57:58]
	v_add_f64_e64 v[63:64], v[14:15], -v[65:66]
	;; [unrolled: 1-line block ×7, first 2 shown]
	v_fma_f64 v[0:1], v[18:19], 2.0, -v[28:29]
	v_fma_f64 v[2:3], v[2:3], 2.0, -v[30:31]
	;; [unrolled: 1-line block ×7, first 2 shown]
	v_lshlrev_b32_e32 v18, 3, v59
	v_add3_u32 v19, 0, v67, v180
	v_lshlrev_b32_e32 v67, 3, v94
	s_delay_alu instid0(VALU_DEP_3) | instskip(NEXT) | instid1(VALU_DEP_3)
	v_add3_u32 v18, 0, v18, v180
	v_add_nc_u32_e32 v59, 0x800, v19
	s_delay_alu instid0(VALU_DEP_3) | instskip(SKIP_1) | instid1(VALU_DEP_4)
	v_add3_u32 v80, 0, v67, v180
	v_lshlrev_b32_e32 v19, 3, v93
	v_add_nc_u32_e32 v79, 0x800, v18
	v_lshlrev_b32_e32 v18, 3, v92
	s_delay_alu instid0(VALU_DEP_4) | instskip(NEXT) | instid1(VALU_DEP_4)
	v_add_nc_u32_e32 v80, 0x1800, v80
	v_add3_u32 v19, 0, v19, v180
	s_delay_alu instid0(VALU_DEP_3)
	v_add3_u32 v18, 0, v18, v180
	v_fma_f64 v[61:62], v[61:62], 2.0, -v[57:58]
	v_fma_f64 v[67:68], v[14:15], 2.0, -v[63:64]
	v_fma_f64 v[69:70], v[16:17], 2.0, -v[45:46]
	v_fma_f64 v[71:72], v[20:21], 2.0, -v[36:37]
	v_fma_f64 v[73:74], v[22:23], 2.0, -v[38:39]
	v_fma_f64 v[75:76], v[24:25], 2.0, -v[47:48]
	v_fma_f64 v[77:78], v[26:27], 2.0, -v[65:66]
	v_add_nc_u32_e32 v81, 0x1000, v18
	v_add_nc_u32_e32 v82, 0x1000, v19
	ds_store_2addr_b64 v179, v[0:1], v[28:29] offset1:68
	ds_store_2addr_b64 v179, v[2:3], v[30:31] offset0:136 offset1:204
	ds_store_2addr_b64 v59, v[6:7], v[49:50] offset0:152 offset1:220
	;; [unrolled: 1-line block ×6, first 2 shown]
	global_wb scope:SCOPE_SE
	s_wait_dscnt 0x0
	s_barrier_signal -1
	s_barrier_wait -1
	global_inv scope:SCOPE_SE
	ds_load_2addr_b64 v[0:3], v179 offset0:68 offset1:136
	ds_load_2addr_b64 v[12:15], v43 offset0:76 offset1:144
	;; [unrolled: 1-line block ×6, first 2 shown]
	ds_load_b64 v[24:25], v178
	ds_load_b64 v[26:27], v179 offset:7072
	global_wb scope:SCOPE_SE
	s_wait_dscnt 0x0
	s_barrier_signal -1
	s_barrier_wait -1
	global_inv scope:SCOPE_SE
	ds_store_2addr_b64 v179, v[61:62], v[57:58] offset1:68
	ds_store_2addr_b64 v179, v[67:68], v[63:64] offset0:136 offset1:204
	ds_store_2addr_b64 v79, v[69:70], v[45:46] offset0:16 offset1:84
	;; [unrolled: 1-line block ×6, first 2 shown]
	global_wb scope:SCOPE_SE
	s_wait_dscnt 0x0
	s_barrier_signal -1
	s_barrier_wait -1
	global_inv scope:SCOPE_SE
	s_and_saveexec_b32 s0, vcc_lo
	s_cbranch_execz .LBB0_24
; %bb.23:
	v_mul_u32_u24_e32 v28, 6, v60
	v_mul_u32_u24_e32 v29, 6, v106
	v_add_nc_u32_e32 v93, 0x1400, v179
	v_add_nc_u32_e32 v97, 0x800, v179
	;; [unrolled: 1-line block ×3, first 2 shown]
	v_lshlrev_b32_e32 v58, 4, v28
	v_lshlrev_b32_e32 v59, 4, v29
	s_mov_b32 s0, 0xe976ee23
	s_mov_b32 s10, 0x37e14327
	;; [unrolled: 1-line block ×3, first 2 shown]
	s_clause 0xb
	global_load_b128 v[28:31], v58, s[8:9] offset:1920
	global_load_b128 v[34:37], v58, s[8:9] offset:1968
	;; [unrolled: 1-line block ×12, first 2 shown]
	v_add_nc_u32_e32 v58, 0x400, v179
	v_add_nc_u32_e32 v59, 0x1000, v179
	s_mov_b32 s8, 0x36b3c0b5
	s_mov_b32 s1, 0xbfe11646
	ds_load_2addr_b64 v[81:84], v58 offset0:76 offset1:144
	ds_load_2addr_b64 v[85:88], v59 offset0:100 offset1:168
	;; [unrolled: 1-line block ×5, first 2 shown]
	ds_load_b64 v[101:102], v179 offset:7072
	ds_load_b64 v[128:129], v178
	ds_load_2addr_b64 v[110:113], v103 offset0:92 offset1:160
	s_mov_b32 s9, 0x3fac98ee
	s_mov_b32 s11, 0x3fe948f6
	;; [unrolled: 1-line block ×9, first 2 shown]
	s_wait_loadcnt 0xb
	v_mul_f64_e32 v[58:59], v[4:5], v[30:31]
	s_wait_loadcnt 0xa
	v_mul_f64_e32 v[114:115], v[20:21], v[36:37]
	s_wait_loadcnt 0x9
	v_mul_f64_e32 v[116:117], v[12:13], v[40:41]
	s_wait_loadcnt 0x8
	v_mul_f64_e32 v[118:119], v[26:27], v[44:45]
	s_wait_loadcnt 0x7
	v_mul_f64_e32 v[120:121], v[14:15], v[48:49]
	s_wait_loadcnt 0x6
	v_mul_f64_e32 v[122:123], v[18:19], v[52:53]
	s_wait_loadcnt 0x5
	v_mul_f64_e32 v[124:125], v[2:3], v[56:57]
	s_wait_loadcnt 0x4
	v_mul_f64_e32 v[126:127], v[22:23], v[63:64]
	s_wait_dscnt 0x7
	v_mul_f64_e32 v[48:49], v[83:84], v[48:49]
	s_wait_dscnt 0x6
	v_mul_f64_e32 v[52:53], v[87:88], v[52:53]
	;; [unrolled: 2-line block ×5, first 2 shown]
	v_mul_f64_e32 v[36:37], v[93:94], v[36:37]
	v_mul_f64_e32 v[40:41], v[81:82], v[40:41]
	s_wait_dscnt 0x2
	v_mul_f64_e32 v[44:45], v[101:102], v[44:45]
	s_wait_loadcnt 0x3
	v_mul_f64_e32 v[130:131], v[85:86], v[67:68]
	s_wait_loadcnt_dscnt 0x200
	v_mul_f64_e32 v[132:133], v[110:111], v[71:72]
	v_mul_f64_e32 v[71:72], v[8:9], v[71:72]
	;; [unrolled: 1-line block ×3, first 2 shown]
	s_wait_loadcnt 0x1
	v_mul_f64_e32 v[134:135], v[112:113], v[75:76]
	s_wait_loadcnt 0x0
	v_mul_f64_e32 v[136:137], v[99:100], v[79:80]
	v_mul_f64_e32 v[79:80], v[6:7], v[79:80]
	;; [unrolled: 1-line block ×3, first 2 shown]
	v_fma_f64 v[58:59], v[28:29], v[97:98], v[58:59]
	v_fma_f64 v[93:94], v[34:35], v[93:94], v[114:115]
	;; [unrolled: 1-line block ×8, first 2 shown]
	v_fma_f64 v[14:15], v[14:15], v[46:47], -v[48:49]
	v_fma_f64 v[18:19], v[18:19], v[50:51], -v[52:53]
	;; [unrolled: 1-line block ×10, first 2 shown]
	v_fma_f64 v[28:29], v[69:70], v[110:111], v[71:72]
	v_fma_f64 v[30:31], v[65:66], v[85:86], v[67:68]
	v_fma_f64 v[10:11], v[10:11], v[73:74], -v[134:135]
	v_fma_f64 v[6:7], v[6:7], v[77:78], -v[136:137]
	v_fma_f64 v[34:35], v[77:78], v[99:100], v[79:80]
	v_fma_f64 v[40:41], v[73:74], v[112:113], v[75:76]
	v_add_f64_e32 v[36:37], v[58:59], v[93:94]
	v_add_f64_e32 v[38:39], v[81:82], v[97:98]
	;; [unrolled: 1-line block ×5, first 2 shown]
	v_add_f64_e64 v[14:15], v[14:15], -v[18:19]
	v_add_f64_e32 v[48:49], v[2:3], v[22:23]
	v_add_f64_e32 v[50:51], v[4:5], v[20:21]
	v_add_f64_e64 v[4:5], v[4:5], -v[20:21]
	v_add_f64_e32 v[52:53], v[12:13], v[26:27]
	v_add_f64_e64 v[12:13], v[12:13], -v[26:27]
	v_add_f64_e64 v[54:55], v[16:17], -v[8:9]
	v_add_f64_e32 v[8:9], v[16:17], v[8:9]
	v_add_f64_e32 v[20:21], v[30:31], v[28:29]
	v_add_f64_e64 v[28:29], v[30:31], -v[28:29]
	v_add_f64_e64 v[26:27], v[10:11], -v[6:7]
	v_add_f64_e32 v[6:7], v[10:11], v[6:7]
	v_add_f64_e32 v[56:57], v[40:41], v[34:35]
	v_add_f64_e64 v[10:11], v[2:3], -v[22:23]
	v_add_f64_e64 v[16:17], v[40:41], -v[34:35]
	;; [unrolled: 1-line block ×6, first 2 shown]
	v_add_f64_e32 v[18:19], v[36:37], v[38:39]
	v_add_f64_e32 v[2:3], v[42:43], v[44:45]
	;; [unrolled: 1-line block ×4, first 2 shown]
	v_add_f64_e64 v[67:68], v[4:5], -v[12:13]
	v_add_f64_e64 v[63:64], v[54:55], -v[4:5]
	;; [unrolled: 1-line block ×9, first 2 shown]
	v_add_f64_e32 v[93:94], v[54:55], v[4:5]
	v_add_f64_e64 v[79:80], v[16:17], -v[22:23]
	v_add_f64_e64 v[81:82], v[22:23], -v[34:35]
	v_add_f64_e64 v[85:86], v[28:29], -v[40:41]
	v_add_f64_e64 v[91:92], v[40:41], -v[58:59]
	v_add_f64_e64 v[54:55], v[12:13], -v[54:55]
	v_add_f64_e32 v[40:41], v[28:29], v[40:41]
	v_add_f64_e32 v[14:15], v[26:27], v[14:15]
	;; [unrolled: 1-line block ×3, first 2 shown]
	v_add_f64_e64 v[36:37], v[36:37], -v[38:39]
	v_add_f64_e64 v[26:27], v[10:11], -v[26:27]
	;; [unrolled: 1-line block ×5, first 2 shown]
	v_add_f64_e32 v[18:19], v[20:21], v[18:19]
	v_add_f64_e64 v[20:21], v[44:45], -v[56:57]
	v_add_f64_e32 v[77:78], v[56:57], v[2:3]
	v_add_f64_e64 v[56:57], v[56:57], -v[42:43]
	v_add_f64_e64 v[42:43], v[42:43], -v[44:45]
	v_add_f64_e32 v[30:31], v[6:7], v[30:31]
	v_add_f64_e32 v[61:62], v[8:9], v[61:62]
	v_add_f64_e64 v[8:9], v[8:9], -v[50:51]
	s_wait_alu 0xf1fe
	v_mul_f64_e32 v[63:64], s[0:1], v[63:64]
	v_mul_f64_e32 v[95:96], s[12:13], v[67:68]
	;; [unrolled: 1-line block ×7, first 2 shown]
	v_add_f64_e64 v[50:51], v[50:51], -v[52:53]
	v_add_f64_e32 v[12:13], v[93:94], v[12:13]
	v_mul_f64_e32 v[79:80], s[0:1], v[79:80]
	v_mul_f64_e32 v[97:98], s[12:13], v[81:82]
	v_add_f64_e32 v[40:41], v[40:41], v[58:59]
	v_add_f64_e32 v[10:11], v[14:15], v[10:11]
	;; [unrolled: 1-line block ×4, first 2 shown]
	v_mul_f64_e32 v[20:21], s[10:11], v[20:21]
	v_mul_f64_e32 v[89:90], s[12:13], v[75:76]
	v_add_f64_e32 v[6:7], v[128:129], v[77:78]
	v_mul_f64_e32 v[44:45], s[8:9], v[56:57]
	v_add_f64_e32 v[4:5], v[24:25], v[30:31]
	v_mul_f64_e32 v[24:25], s[10:11], v[83:84]
	v_mul_f64_e32 v[83:84], s[0:1], v[85:86]
	;; [unrolled: 1-line block ×3, first 2 shown]
	v_add_f64_e32 v[0:1], v[0:1], v[61:62]
	v_mul_f64_e32 v[52:53], s[8:9], v[8:9]
	s_mov_b32 s0, 0xaaaaaaaa
	s_mov_b32 s1, 0xbff2aaaa
	s_mov_b32 s11, 0xbfd5d0dc
	s_mov_b32 s10, s4
	v_fma_f64 v[22:23], v[54:55], s[4:5], v[63:64]
	v_fma_f64 v[34:35], v[69:70], s[8:9], v[65:66]
	s_wait_alu 0xfffe
	v_fma_f64 v[54:55], v[54:55], s[10:11], -v[95:96]
	v_fma_f64 v[58:59], v[36:37], s[14:15], -v[65:66]
	;; [unrolled: 1-line block ×4, first 2 shown]
	v_fma_f64 v[63:64], v[26:27], s[4:5], v[71:72]
	v_fma_f64 v[65:66], v[87:88], s[8:9], v[73:74]
	v_fma_f64 v[67:68], v[75:76], s[12:13], -v[71:72]
	v_fma_f64 v[71:72], v[81:82], s[12:13], -v[79:80]
	;; [unrolled: 1-line block ×4, first 2 shown]
	v_mul_hi_u32 v87, 0xf0f0f0f1, v60
	v_fma_f64 v[18:19], v[18:19], s[0:1], v[2:3]
	v_fma_f64 v[56:57], v[56:57], s[8:9], v[20:21]
	v_fma_f64 v[20:21], v[42:43], s[14:15], -v[20:21]
	v_fma_f64 v[26:27], v[26:27], s[10:11], -v[89:90]
	v_fma_f64 v[69:70], v[77:78], s[0:1], v[6:7]
	v_fma_f64 v[42:43], v[42:43], s[16:17], -v[44:45]
	v_fma_f64 v[44:45], v[16:17], s[4:5], v[79:80]
	;; [unrolled: 2-line block ×3, first 2 shown]
	v_fma_f64 v[8:9], v[8:9], s[8:9], v[24:25]
	v_fma_f64 v[48:49], v[28:29], s[4:5], v[83:84]
	v_fma_f64 v[28:29], v[28:29], s[10:11], -v[85:86]
	v_fma_f64 v[61:62], v[61:62], s[0:1], v[0:1]
	v_fma_f64 v[24:25], v[50:51], s[14:15], -v[24:25]
	v_fma_f64 v[75:76], v[91:92], s[12:13], -v[83:84]
	;; [unrolled: 1-line block ×3, first 2 shown]
	s_mov_b32 s0, 0x37c3f68c
	s_mov_b32 s1, 0x3fdc38aa
	v_mad_co_u64_u32 v[85:86], null, s2, v108, 0
	s_wait_alu 0xfffe
	v_fma_f64 v[77:78], v[12:13], s[0:1], v[22:23]
	v_fma_f64 v[52:53], v[12:13], s[0:1], v[54:55]
	;; [unrolled: 1-line block ×5, first 2 shown]
	v_add_f64_e32 v[54:55], v[34:35], v[18:19]
	v_add_f64_e32 v[34:35], v[58:59], v[18:19]
	;; [unrolled: 1-line block ×3, first 2 shown]
	v_fma_f64 v[58:59], v[10:11], s[0:1], v[26:27]
	v_add_f64_e32 v[56:57], v[56:57], v[69:70]
	v_add_f64_e32 v[20:21], v[20:21], v[69:70]
	v_fma_f64 v[67:68], v[14:15], s[0:1], v[44:45]
	v_add_f64_e32 v[42:43], v[42:43], v[69:70]
	v_add_f64_e32 v[65:66], v[65:66], v[30:31]
	v_fma_f64 v[16:17], v[14:15], s[0:1], v[16:17]
	v_fma_f64 v[69:70], v[14:15], s[0:1], v[71:72]
	v_add_f64_e32 v[71:72], v[73:74], v[30:31]
	v_add_f64_e32 v[73:74], v[46:47], v[30:31]
	v_fma_f64 v[79:80], v[40:41], s[0:1], v[48:49]
	v_add_f64_e32 v[8:9], v[8:9], v[61:62]
	v_fma_f64 v[81:82], v[40:41], s[0:1], v[28:29]
	;; [unrolled: 2-line block ×3, first 2 shown]
	v_add_f64_e32 v[61:62], v[50:51], v[61:62]
	v_mul_lo_u32 v10, s3, v108
	v_mul_lo_u32 v11, s2, v109
	s_delay_alu instid0(VALU_DEP_1)
	v_add3_u32 v86, v86, v11, v10
	v_add_f64_e32 v[10:11], v[77:78], v[54:55]
	v_add_f64_e32 v[14:15], v[52:53], v[34:35]
	v_add_f64_e64 v[26:27], v[34:35], -v[52:53]
	v_add_f64_e64 v[18:19], v[22:23], -v[12:13]
	;; [unrolled: 1-line block ×4, first 2 shown]
	v_add_f64_e32 v[30:31], v[38:39], v[56:57]
	v_add_f64_e64 v[40:41], v[42:43], -v[63:64]
	v_add_f64_e32 v[50:51], v[67:68], v[65:66]
	v_add_f64_e32 v[44:45], v[63:64], v[42:43]
	;; [unrolled: 1-line block ×4, first 2 shown]
	v_add_f64_e64 v[42:43], v[73:74], -v[69:70]
	v_add_f64_e32 v[38:39], v[69:70], v[73:74]
	v_add_f64_e64 v[34:35], v[71:72], -v[16:17]
	v_add_f64_e64 v[28:29], v[65:66], -v[67:68]
	;; [unrolled: 1-line block ×3, first 2 shown]
	v_add_f64_e32 v[54:55], v[79:80], v[8:9]
	v_add_f64_e32 v[24:25], v[81:82], v[83:84]
	;; [unrolled: 1-line block ×3, first 2 shown]
	v_add_f64_e64 v[20:21], v[61:62], -v[75:76]
	v_add_f64_e32 v[16:17], v[75:76], v[61:62]
	v_add_f64_e64 v[12:13], v[83:84], -v[81:82]
	v_add_f64_e64 v[8:9], v[8:9], -v[79:80]
	v_lshlrev_b64_e32 v[58:59], 4, v[85:86]
	v_lshlrev_b64_e32 v[60:61], 4, v[104:105]
	v_lshrrev_b32_e32 v62, 7, v87
	s_delay_alu instid0(VALU_DEP_3) | instskip(SKIP_1) | instid1(VALU_DEP_4)
	v_add_co_u32 v58, vcc_lo, s6, v58
	s_wait_alu 0xfffd
	v_add_co_ci_u32_e32 v59, vcc_lo, s7, v59, vcc_lo
	s_delay_alu instid0(VALU_DEP_3) | instskip(NEXT) | instid1(VALU_DEP_3)
	v_mul_u32_u24_e32 v106, 0x330, v62
	v_add_co_u32 v60, vcc_lo, v58, v60
	s_wait_alu 0xfffd
	s_delay_alu instid0(VALU_DEP_3) | instskip(NEXT) | instid1(VALU_DEP_3)
	v_add_co_ci_u32_e32 v61, vcc_lo, v59, v61, vcc_lo
	v_lshlrev_b64_e32 v[58:59], 4, v[106:107]
	s_delay_alu instid0(VALU_DEP_3) | instskip(SKIP_1) | instid1(VALU_DEP_3)
	v_add_co_u32 v32, vcc_lo, v60, v32
	s_wait_alu 0xfffd
	v_add_co_ci_u32_e32 v33, vcc_lo, v61, v33, vcc_lo
	s_delay_alu instid0(VALU_DEP_2) | instskip(SKIP_1) | instid1(VALU_DEP_2)
	v_add_co_u32 v58, vcc_lo, v32, v58
	s_wait_alu 0xfffd
	v_add_co_ci_u32_e32 v59, vcc_lo, v33, v59, vcc_lo
	s_clause 0xd
	global_store_b128 v[32:33], v[4:7], off
	global_store_b128 v[32:33], v[50:53], off offset:2176
	global_store_b128 v[32:33], v[46:49], off offset:4352
	;; [unrolled: 1-line block ×13, first 2 shown]
.LBB0_24:
	s_nop 0
	s_sendmsg sendmsg(MSG_DEALLOC_VGPRS)
	s_endpgm
	.section	.rodata,"a",@progbits
	.p2align	6, 0x0
	.amdhsa_kernel fft_rtc_fwd_len952_factors_17_4_2_7_wgs_204_tpt_68_halfLds_dp_op_CI_CI_unitstride_sbrr_dirReg
		.amdhsa_group_segment_fixed_size 0
		.amdhsa_private_segment_fixed_size 0
		.amdhsa_kernarg_size 104
		.amdhsa_user_sgpr_count 2
		.amdhsa_user_sgpr_dispatch_ptr 0
		.amdhsa_user_sgpr_queue_ptr 0
		.amdhsa_user_sgpr_kernarg_segment_ptr 1
		.amdhsa_user_sgpr_dispatch_id 0
		.amdhsa_user_sgpr_private_segment_size 0
		.amdhsa_wavefront_size32 1
		.amdhsa_uses_dynamic_stack 0
		.amdhsa_enable_private_segment 0
		.amdhsa_system_sgpr_workgroup_id_x 1
		.amdhsa_system_sgpr_workgroup_id_y 0
		.amdhsa_system_sgpr_workgroup_id_z 0
		.amdhsa_system_sgpr_workgroup_info 0
		.amdhsa_system_vgpr_workitem_id 0
		.amdhsa_next_free_vgpr 233
		.amdhsa_next_free_sgpr 60
		.amdhsa_reserve_vcc 1
		.amdhsa_float_round_mode_32 0
		.amdhsa_float_round_mode_16_64 0
		.amdhsa_float_denorm_mode_32 3
		.amdhsa_float_denorm_mode_16_64 3
		.amdhsa_fp16_overflow 0
		.amdhsa_workgroup_processor_mode 1
		.amdhsa_memory_ordered 1
		.amdhsa_forward_progress 0
		.amdhsa_round_robin_scheduling 0
		.amdhsa_exception_fp_ieee_invalid_op 0
		.amdhsa_exception_fp_denorm_src 0
		.amdhsa_exception_fp_ieee_div_zero 0
		.amdhsa_exception_fp_ieee_overflow 0
		.amdhsa_exception_fp_ieee_underflow 0
		.amdhsa_exception_fp_ieee_inexact 0
		.amdhsa_exception_int_div_zero 0
	.end_amdhsa_kernel
	.text
.Lfunc_end0:
	.size	fft_rtc_fwd_len952_factors_17_4_2_7_wgs_204_tpt_68_halfLds_dp_op_CI_CI_unitstride_sbrr_dirReg, .Lfunc_end0-fft_rtc_fwd_len952_factors_17_4_2_7_wgs_204_tpt_68_halfLds_dp_op_CI_CI_unitstride_sbrr_dirReg
                                        ; -- End function
	.section	.AMDGPU.csdata,"",@progbits
; Kernel info:
; codeLenInByte = 12476
; NumSgprs: 62
; NumVgprs: 233
; ScratchSize: 0
; MemoryBound: 1
; FloatMode: 240
; IeeeMode: 1
; LDSByteSize: 0 bytes/workgroup (compile time only)
; SGPRBlocks: 7
; VGPRBlocks: 29
; NumSGPRsForWavesPerEU: 62
; NumVGPRsForWavesPerEU: 233
; Occupancy: 6
; WaveLimiterHint : 1
; COMPUTE_PGM_RSRC2:SCRATCH_EN: 0
; COMPUTE_PGM_RSRC2:USER_SGPR: 2
; COMPUTE_PGM_RSRC2:TRAP_HANDLER: 0
; COMPUTE_PGM_RSRC2:TGID_X_EN: 1
; COMPUTE_PGM_RSRC2:TGID_Y_EN: 0
; COMPUTE_PGM_RSRC2:TGID_Z_EN: 0
; COMPUTE_PGM_RSRC2:TIDIG_COMP_CNT: 0
	.text
	.p2alignl 7, 3214868480
	.fill 96, 4, 3214868480
	.type	__hip_cuid_d1003c5bdc64fc09,@object ; @__hip_cuid_d1003c5bdc64fc09
	.section	.bss,"aw",@nobits
	.globl	__hip_cuid_d1003c5bdc64fc09
__hip_cuid_d1003c5bdc64fc09:
	.byte	0                               ; 0x0
	.size	__hip_cuid_d1003c5bdc64fc09, 1

	.ident	"AMD clang version 19.0.0git (https://github.com/RadeonOpenCompute/llvm-project roc-6.4.0 25133 c7fe45cf4b819c5991fe208aaa96edf142730f1d)"
	.section	".note.GNU-stack","",@progbits
	.addrsig
	.addrsig_sym __hip_cuid_d1003c5bdc64fc09
	.amdgpu_metadata
---
amdhsa.kernels:
  - .args:
      - .actual_access:  read_only
        .address_space:  global
        .offset:         0
        .size:           8
        .value_kind:     global_buffer
      - .offset:         8
        .size:           8
        .value_kind:     by_value
      - .actual_access:  read_only
        .address_space:  global
        .offset:         16
        .size:           8
        .value_kind:     global_buffer
      - .actual_access:  read_only
        .address_space:  global
        .offset:         24
        .size:           8
        .value_kind:     global_buffer
      - .actual_access:  read_only
        .address_space:  global
        .offset:         32
        .size:           8
        .value_kind:     global_buffer
      - .offset:         40
        .size:           8
        .value_kind:     by_value
      - .actual_access:  read_only
        .address_space:  global
        .offset:         48
        .size:           8
        .value_kind:     global_buffer
      - .actual_access:  read_only
        .address_space:  global
        .offset:         56
        .size:           8
        .value_kind:     global_buffer
      - .offset:         64
        .size:           4
        .value_kind:     by_value
      - .actual_access:  read_only
        .address_space:  global
        .offset:         72
        .size:           8
        .value_kind:     global_buffer
      - .actual_access:  read_only
        .address_space:  global
        .offset:         80
        .size:           8
        .value_kind:     global_buffer
      - .actual_access:  read_only
        .address_space:  global
        .offset:         88
        .size:           8
        .value_kind:     global_buffer
      - .actual_access:  write_only
        .address_space:  global
        .offset:         96
        .size:           8
        .value_kind:     global_buffer
    .group_segment_fixed_size: 0
    .kernarg_segment_align: 8
    .kernarg_segment_size: 104
    .language:       OpenCL C
    .language_version:
      - 2
      - 0
    .max_flat_workgroup_size: 204
    .name:           fft_rtc_fwd_len952_factors_17_4_2_7_wgs_204_tpt_68_halfLds_dp_op_CI_CI_unitstride_sbrr_dirReg
    .private_segment_fixed_size: 0
    .sgpr_count:     62
    .sgpr_spill_count: 0
    .symbol:         fft_rtc_fwd_len952_factors_17_4_2_7_wgs_204_tpt_68_halfLds_dp_op_CI_CI_unitstride_sbrr_dirReg.kd
    .uniform_work_group_size: 1
    .uses_dynamic_stack: false
    .vgpr_count:     233
    .vgpr_spill_count: 0
    .wavefront_size: 32
    .workgroup_processor_mode: 1
amdhsa.target:   amdgcn-amd-amdhsa--gfx1201
amdhsa.version:
  - 1
  - 2
...

	.end_amdgpu_metadata
